;; amdgpu-corpus repo=ggml-org/llama.cpp kind=compiled arch=gfx906 opt=O3
	.amdgcn_target "amdgcn-amd-amdhsa--gfx906"
	.amdhsa_code_object_version 6
	.section	.text._ZL12rwkv_wkv_f32ILi64EEviiiiPKfS1_S1_S1_S1_S1_Pf,"axG",@progbits,_ZL12rwkv_wkv_f32ILi64EEviiiiPKfS1_S1_S1_S1_S1_Pf,comdat
	.globl	_ZL12rwkv_wkv_f32ILi64EEviiiiPKfS1_S1_S1_S1_S1_Pf ; -- Begin function _ZL12rwkv_wkv_f32ILi64EEviiiiPKfS1_S1_S1_S1_S1_Pf
	.p2align	8
	.type	_ZL12rwkv_wkv_f32ILi64EEviiiiPKfS1_S1_S1_S1_S1_Pf,@function
_ZL12rwkv_wkv_f32ILi64EEviiiiPKfS1_S1_S1_S1_S1_Pf: ; @_ZL12rwkv_wkv_f32ILi64EEviiiiPKfS1_S1_S1_S1_S1_Pf
; %bb.0:
	s_mov_b64 s[30:31], s[2:3]
	s_mov_b64 s[28:29], s[0:1]
	s_load_dwordx4 s[0:3], s[4:5], 0x0
	s_load_dwordx8 s[16:23], s[4:5], 0x10
	s_load_dwordx8 s[8:15], s[4:5], 0x30
	s_add_u32 s28, s28, s7
	s_addc_u32 s29, s29, 0
	s_waitcnt lgkmcnt(0)
	s_abs_i32 s7, s3
	v_cvt_f32_u32_e32 v1, s7
	s_sub_i32 s14, 0, s7
	s_abs_i32 s5, s6
	s_xor_b32 s4, s6, s3
	v_rcp_iflag_f32_e32 v1, v1
	s_ashr_i32 s4, s4, 31
	v_mov_b32_e32 v3, s11
	v_mov_b32_e32 v9, s11
	v_mul_f32_e32 v1, 0x4f7ffffe, v1
	v_cvt_u32_f32_e32 v1, v1
	v_readfirstlane_b32 s15, v1
	s_mul_i32 s14, s14, s15
	s_mul_hi_u32 s14, s15, s14
	s_add_i32 s15, s15, s14
	s_mul_hi_u32 s14, s5, s15
	s_mul_i32 s15, s14, s7
	s_sub_i32 s5, s5, s15
	s_add_i32 s15, s14, 1
	s_sub_i32 s24, s5, s7
	s_cmp_ge_u32 s5, s7
	s_cselect_b32 s14, s15, s14
	s_cselect_b32 s5, s24, s5
	s_add_i32 s15, s14, 1
	s_cmp_ge_u32 s5, s7
	s_cselect_b32 s5, s15, s14
	s_xor_b32 s5, s5, s4
	s_sub_i32 s4, s5, s4
	s_mul_i32 s3, s4, s3
	s_sub_i32 s3, s6, s3
	s_mul_i32 s5, s2, s4
	s_lshl_b32 s5, s5, 6
	s_lshl_b32 s6, s3, 12
	s_add_i32 s6, s6, s5
	v_add_u32_e32 v18, s6, v0
	v_ashrrev_i32_e32 v19, 31, v18
	v_lshlrev_b64 v[1:2], 2, v[18:19]
	s_xor_b32 s5, s1, s0
	v_add_co_u32_e32 v1, vcc, s10, v1
	v_addc_co_u32_e32 v2, vcc, v3, v2, vcc
	global_load_dword v3, v[1:2], off
	s_abs_i32 s0, s0
	s_sub_i32 s7, 0, s0
	s_abs_i32 s6, s1
	s_ashr_i32 s5, s5, 31
	s_waitcnt vmcnt(0)
	buffer_store_dword v3, off, s[28:31], 0 offset:20 ; 4-byte Folded Spill
	global_load_dword v3, v[1:2], off offset:256
	s_waitcnt vmcnt(0)
	buffer_store_dword v3, off, s[28:31], 0 offset:8 ; 4-byte Folded Spill
	global_load_dword v3, v[1:2], off offset:512
	;; [unrolled: 3-line block ×3, first 2 shown]
	s_waitcnt vmcnt(0)
	buffer_store_dword v3, off, s[28:31], 0 ; 4-byte Folded Spill
	global_load_dword v3, v[1:2], off offset:1024
	s_waitcnt vmcnt(0)
	buffer_store_dword v3, off, s[28:31], 0 offset:16 ; 4-byte Folded Spill
	global_load_dword v21, v[1:2], off offset:1280
	global_load_dword v27, v[1:2], off offset:1536
	global_load_dword v24, v[1:2], off offset:1792
	global_load_dword v26, v[1:2], off offset:2048
	s_nop 0
	global_load_dword v3, v[1:2], off offset:2304
	s_waitcnt vmcnt(0)
	buffer_store_dword v3, off, s[28:31], 0 offset:24 ; 4-byte Folded Spill
	global_load_dword v25, v[1:2], off offset:2560
	s_nop 0
	global_load_dword v3, v[1:2], off offset:2816
	s_waitcnt vmcnt(0)
	buffer_store_dword v3, off, s[28:31], 0 offset:12 ; 4-byte Folded Spill
	global_load_dword v60, v[1:2], off offset:3072
	global_load_dword v33, v[1:2], off offset:3328
	;; [unrolled: 1-line block ×4, first 2 shown]
	v_add_u32_e32 v1, 0x400, v18
	v_ashrrev_i32_e32 v2, 31, v1
	v_lshlrev_b64 v[1:2], 2, v[1:2]
	v_mov_b32_e32 v3, s11
	v_add_co_u32_e32 v1, vcc, s10, v1
	v_addc_co_u32_e32 v2, vcc, v3, v2, vcc
	global_load_dword v35, v[1:2], off
	v_add_u32_e32 v1, 0x440, v18
	v_ashrrev_i32_e32 v2, 31, v1
	v_lshlrev_b64 v[1:2], 2, v[1:2]
	v_add_co_u32_e32 v1, vcc, s10, v1
	v_addc_co_u32_e32 v2, vcc, v3, v2, vcc
	global_load_dword v62, v[1:2], off
	v_add_u32_e32 v1, 0x480, v18
	v_ashrrev_i32_e32 v2, 31, v1
	v_lshlrev_b64 v[1:2], 2, v[1:2]
	;; [unrolled: 6-line block ×33, first 2 shown]
	v_add_co_u32_e32 v1, vcc, s10, v1
	v_addc_co_u32_e32 v2, vcc, v3, v2, vcc
	global_load_dword v1, v[1:2], off
	s_waitcnt vmcnt(0)
	buffer_store_dword v1, off, s[28:31], 0 offset:44 ; 4-byte Folded Spill
	v_add_u32_e32 v1, 0xc80, v18
	v_ashrrev_i32_e32 v2, 31, v1
	v_lshlrev_b64 v[1:2], 2, v[1:2]
	v_add_co_u32_e32 v1, vcc, s10, v1
	v_addc_co_u32_e32 v2, vcc, v3, v2, vcc
	global_load_dword v1, v[1:2], off
	s_waitcnt vmcnt(0)
	buffer_store_dword v1, off, s[28:31], 0 offset:52 ; 4-byte Folded Spill
	v_add_u32_e32 v1, 0xcc0, v18
	v_ashrrev_i32_e32 v2, 31, v1
	v_lshlrev_b64 v[1:2], 2, v[1:2]
	;; [unrolled: 8-line block ×3, first 2 shown]
	v_add_co_u32_e32 v1, vcc, s10, v1
	v_addc_co_u32_e32 v2, vcc, v3, v2, vcc
	global_load_dword v3, v[1:2], off
	v_add_u32_e32 v1, 0xd40, v18
	v_ashrrev_i32_e32 v2, 31, v1
	v_lshlrev_b64 v[1:2], 2, v[1:2]
	v_add_co_u32_e32 v1, vcc, s10, v1
	v_addc_co_u32_e32 v2, vcc, v9, v2, vcc
	v_add_u32_e32 v9, 0xd80, v18
	v_ashrrev_i32_e32 v10, 31, v9
	v_lshlrev_b64 v[9:10], 2, v[9:10]
	global_load_dword v2, v[1:2], off
	v_add_co_u32_e32 v9, vcc, s10, v9
	v_mov_b32_e32 v1, s11
	v_addc_co_u32_e32 v10, vcc, v1, v10, vcc
	global_load_dword v22, v[9:10], off
	v_add_u32_e32 v9, 0xdc0, v18
	v_ashrrev_i32_e32 v10, 31, v9
	v_lshlrev_b64 v[9:10], 2, v[9:10]
	v_add_co_u32_e32 v9, vcc, s10, v9
	v_addc_co_u32_e32 v10, vcc, v1, v10, vcc
	global_load_dword v1, v[9:10], off
	v_add_u32_e32 v9, 0xe00, v18
	v_ashrrev_i32_e32 v10, 31, v9
	v_lshlrev_b64 v[9:10], 2, v[9:10]
	v_add_co_u32_e32 v9, vcc, s10, v9
	s_waitcnt vmcnt(0)
	buffer_store_dword v1, off, s[28:31], 0 offset:28 ; 4-byte Folded Spill
	v_mov_b32_e32 v1, s11
	v_addc_co_u32_e32 v10, vcc, v1, v10, vcc
	global_load_dword v12, v[9:10], off
	v_add_u32_e32 v9, 0xe40, v18
	v_ashrrev_i32_e32 v10, 31, v9
	v_lshlrev_b64 v[9:10], 2, v[9:10]
	v_add_co_u32_e32 v9, vcc, s10, v9
	v_addc_co_u32_e32 v10, vcc, v1, v10, vcc
	global_load_dword v13, v[9:10], off
	v_add_u32_e32 v9, 0xe80, v18
	v_ashrrev_i32_e32 v10, 31, v9
	v_lshlrev_b64 v[9:10], 2, v[9:10]
	v_add_co_u32_e32 v9, vcc, s10, v9
	;; [unrolled: 6-line block ×7, first 2 shown]
	v_addc_co_u32_e32 v10, vcc, v1, v10, vcc
	v_cvt_f32_u32_e32 v1, s0
	global_load_dword v17, v[9:10], off
	v_lshl_add_u32 v9, s3, 6, v0
	v_ashrrev_i32_e32 v10, 31, v9
	v_rcp_iflag_f32_e32 v1, v1
	v_lshlrev_b64 v[10:11], 2, v[9:10]
	v_add_co_u32_e32 v10, vcc, s22, v10
	v_mul_f32_e32 v1, 0x4f7ffffe, v1
	v_cvt_u32_f32_e32 v1, v1
	s_waitcnt vmcnt(0)
	s_barrier
	v_lshlrev_b32_e32 v0, 2, v0
	v_readfirstlane_b32 s10, v1
	v_mov_b32_e32 v1, s23
	v_addc_co_u32_e32 v11, vcc, v1, v11, vcc
	global_load_dword v1, v[10:11], off
	s_mul_i32 s7, s7, s10
	s_mul_hi_u32 s7, s10, s7
	s_add_i32 s10, s10, s7
	s_mul_hi_u32 s7, s6, s10
	s_mul_i32 s10, s7, s0
	s_sub_i32 s6, s6, s10
	s_add_i32 s10, s7, 1
	s_sub_i32 s11, s6, s0
	s_cmp_ge_u32 s6, s0
	s_cselect_b32 s7, s10, s7
	s_cselect_b32 s6, s11, s6
	s_add_i32 s10, s7, 1
	s_cmp_ge_u32 s6, s0
	s_cselect_b32 s0, s10, s7
	s_xor_b32 s0, s0, s5
	s_sub_i32 s0, s0, s5
	s_mul_i32 s0, s0, s2
	s_mul_i32 s3, s0, s4
	s_add_i32 s4, s4, 1
	s_mul_i32 s0, s0, s4
	v_add_u32_e32 v29, s3, v9
	s_waitcnt vmcnt(0)
	ds_write_b32 v0, v1 offset:768
	v_add_u32_e32 v1, s0, v9
	v_cmp_lt_i32_e32 vcc, v29, v1
	s_waitcnt lgkmcnt(0)
	s_barrier
	s_and_saveexec_b64 s[4:5], vcc
	s_cbranch_execz .LBB0_4
; %bb.1:
	buffer_store_dword v18, off, s[28:31], 0 offset:268 ; 4-byte Folded Spill
	s_nop 0
	buffer_store_dword v19, off, s[28:31], 0 offset:272 ; 4-byte Folded Spill
	buffer_store_dword v4, off, s[28:31], 0 offset:32 ; 4-byte Folded Spill
	;; [unrolled: 1-line block ×5, first 2 shown]
	v_mov_b32_e32 v9, v23
	buffer_load_dword v62, off, s[28:31], 0 offset:44 ; 4-byte Folded Reload
	buffer_load_dword v23, off, s[28:31], 0 offset:52 ; 4-byte Folded Reload
	;; [unrolled: 1-line block ×3, first 2 shown]
	v_ashrrev_i32_e32 v30, 31, v29
	v_lshlrev_b64 v[10:11], 2, v[29:30]
	s_ashr_i32 s3, s2, 31
	s_lshl_b64 s[10:11], s[2:3], 2
	s_mov_b64 s[6:7], 0
	v_mov_b32_e32 v46, 0
	v_mov_b32_e32 v38, v20
	buffer_store_dword v1, off, s[28:31], 0 offset:260 ; 4-byte Folded Spill
	v_mov_b32_e32 v4, v19
.LBB0_2:                                ; =>This Inner Loop Header: Depth=1
	v_add_co_u32_e32 v0, vcc, s16, v10
	v_mov_b32_e32 v1, s17
	buffer_store_dword v29, off, s[28:31], 0 offset:44 ; 4-byte Folded Spill
	s_nop 0
	buffer_store_dword v30, off, s[28:31], 0 offset:48 ; 4-byte Folded Spill
	v_addc_co_u32_e32 v1, vcc, v1, v11, vcc
	buffer_load_dword v19, off, s[28:31], 0 offset:20 ; 4-byte Folded Reload
	buffer_load_dword v18, off, s[28:31], 0 offset:8 ; 4-byte Folded Reload
	;; [unrolled: 1-line block ×3, first 2 shown]
	buffer_load_dword v29, off, s[28:31], 0 ; 4-byte Folded Reload
	buffer_load_dword v20, off, s[28:31], 0 offset:16 ; 4-byte Folded Reload
	buffer_load_dword v59, off, s[28:31], 0 offset:24 ; 4-byte Folded Reload
	s_nop 0
	buffer_store_dword v33, off, s[28:31], 0 offset:180 ; 4-byte Folded Spill
	buffer_store_dword v9, off, s[28:31], 0 offset:108 ; 4-byte Folded Spill
	;; [unrolled: 1-line block ×33, first 2 shown]
	s_waitcnt vmcnt(44)
	buffer_store_dword v62, off, s[28:31], 0 offset:100 ; 4-byte Folded Spill
	s_waitcnt vmcnt(44)
	buffer_store_dword v23, off, s[28:31], 0 offset:96 ; 4-byte Folded Spill
	;; [unrolled: 2-line block ×3, first 2 shown]
	buffer_store_dword v3, off, s[28:31], 0 offset:92 ; 4-byte Folded Spill
	buffer_store_dword v2, off, s[28:31], 0 offset:88 ; 4-byte Folded Spill
	buffer_store_dword v22, off, s[28:31], 0 offset:84 ; 4-byte Folded Spill
	buffer_store_dword v12, off, s[28:31], 0 offset:80 ; 4-byte Folded Spill
	buffer_store_dword v13, off, s[28:31], 0 offset:76 ; 4-byte Folded Spill
	buffer_store_dword v36, off, s[28:31], 0 offset:72 ; 4-byte Folded Spill
	buffer_store_dword v38, off, s[28:31], 0 offset:68 ; 4-byte Folded Spill
	buffer_store_dword v14, off, s[28:31], 0 offset:64 ; 4-byte Folded Spill
	buffer_store_dword v15, off, s[28:31], 0 offset:60 ; 4-byte Folded Spill
	buffer_store_dword v16, off, s[28:31], 0 offset:56 ; 4-byte Folded Spill
	buffer_store_dword v17, off, s[28:31], 0 offset:52 ; 4-byte Folded Spill
	s_waitcnt vmcnt(0)
	s_barrier
	global_load_dword v0, v[0:1], off
	v_mov_b32_e32 v1, s21
	buffer_load_dword v2, off, s[28:31], 0 offset:264 ; 4-byte Folded Reload
	s_waitcnt vmcnt(0)
	ds_write_b32 v2, v0
	v_add_co_u32_e32 v0, vcc, s20, v10
	v_addc_co_u32_e32 v1, vcc, v1, v11, vcc
	global_load_dword v0, v[0:1], off
	v_add_u32_e32 v1, 0x100, v2
	s_waitcnt vmcnt(0)
	ds_write_b32 v1, v0
	v_add_co_u32_e32 v0, vcc, s8, v10
	v_mov_b32_e32 v1, s9
	v_addc_co_u32_e32 v1, vcc, v1, v11, vcc
	global_load_dword v0, v[0:1], off
	v_add_u32_e32 v1, 0x200, v2
	s_waitcnt vmcnt(0)
	ds_write_b32 v1, v0
	v_add_co_u32_e32 v0, vcc, s18, v10
	v_mov_b32_e32 v1, s19
	v_addc_co_u32_e32 v1, vcc, v1, v11, vcc
	s_waitcnt lgkmcnt(0)
	s_barrier
	global_load_dword v17, v[0:1], off
	ds_read_b128 v[12:15], v46
	ds_read_b128 v[33:36], v46 offset:16
	ds_read_b128 v[4:7], v46 offset:32
	ds_read_b128 v[0:3], v46 offset:48
	s_waitcnt vmcnt(0) lgkmcnt(3)
	v_mul_f32_e32 v22, v17, v12
	v_mul_f32_e32 v41, v17, v13
	;; [unrolled: 1-line block ×4, first 2 shown]
	ds_read_b128 v[12:15], v46 offset:256
	ds_read_b128 v[37:40], v46 offset:768
	s_waitcnt lgkmcnt(0)
	v_fma_f32 v8, v22, v37, v19
	v_fma_f32 v9, v12, v8, 0
	;; [unrolled: 1-line block ×3, first 2 shown]
	v_fmac_f32_e32 v9, v13, v8
	v_fma_f32 v8, v23, v39, v30
	v_fmac_f32_e32 v9, v14, v8
	v_fma_f32 v8, v16, v40, v29
	v_fmac_f32_e32 v9, v15, v8
	ds_read_b128 v[12:15], v46 offset:512
	s_waitcnt lgkmcnt(0)
	v_fmac_f32_e32 v22, v19, v12
	v_fmac_f32_e32 v41, v18, v13
	;; [unrolled: 1-line block ×4, first 2 shown]
	buffer_store_dword v22, off, s[28:31], 0 offset:20 ; 4-byte Folded Spill
	buffer_store_dword v41, off, s[28:31], 0 offset:8 ; 4-byte Folded Spill
	;; [unrolled: 1-line block ×3, first 2 shown]
	buffer_store_dword v16, off, s[28:31], 0 ; 4-byte Folded Spill
	ds_read_b128 v[12:15], v46 offset:272
	ds_read_b128 v[29:32], v46 offset:784
	v_mul_f32_e32 v16, v17, v33
	v_mul_f32_e32 v18, v17, v34
	;; [unrolled: 1-line block ×4, first 2 shown]
	s_waitcnt lgkmcnt(0)
	v_fma_f32 v8, v16, v29, v20
	v_fmac_f32_e32 v9, v12, v8
	v_fma_f32 v8, v18, v30, v21
	v_fmac_f32_e32 v9, v13, v8
	;; [unrolled: 2-line block ×4, first 2 shown]
	ds_read_b128 v[12:15], v46 offset:528
	v_mul_f32_e32 v29, v17, v6
	s_waitcnt lgkmcnt(0)
	v_fmac_f32_e32 v16, v20, v12
	v_fmac_f32_e32 v18, v21, v13
	v_fmac_f32_e32 v22, v27, v14
	v_fmac_f32_e32 v19, v24, v15
	buffer_store_dword v16, off, s[28:31], 0 offset:16 ; 4-byte Folded Spill
	buffer_store_dword v18, off, s[28:31], 0 offset:128 ; 4-byte Folded Spill
	;; [unrolled: 1-line block ×4, first 2 shown]
	v_mul_f32_e32 v19, v17, v4
	v_mul_f32_e32 v18, v17, v5
	;; [unrolled: 1-line block ×3, first 2 shown]
	ds_read_b128 v[4:7], v46 offset:288
	ds_read_b128 v[12:15], v46 offset:800
	s_waitcnt lgkmcnt(0)
	v_fma_f32 v8, v19, v12, v26
	v_fmac_f32_e32 v9, v4, v8
	v_mov_b32_e32 v8, v59
	buffer_load_dword v59, off, s[28:31], 0 offset:12 ; 4-byte Folded Reload
	v_fma_f32 v4, v18, v13, v8
	v_fmac_f32_e32 v9, v5, v4
	v_fma_f32 v4, v29, v14, v25
	v_fmac_f32_e32 v9, v6, v4
	v_mul_f32_e32 v13, v17, v0
	v_mul_f32_e32 v14, v17, v1
	;; [unrolled: 1-line block ×3, first 2 shown]
	s_waitcnt vmcnt(0)
	v_fma_f32 v4, v16, v15, v59
	v_fmac_f32_e32 v9, v7, v4
	ds_read_b128 v[4:7], v46 offset:544
	s_waitcnt lgkmcnt(0)
	v_fmac_f32_e32 v19, v26, v4
	v_fmac_f32_e32 v18, v8, v5
	;; [unrolled: 1-line block ×3, first 2 shown]
	buffer_store_dword v19, off, s[28:31], 0 offset:156 ; 4-byte Folded Spill
	buffer_store_dword v18, off, s[28:31], 0 offset:24 ; 4-byte Folded Spill
	;; [unrolled: 1-line block ×3, first 2 shown]
	v_fmac_f32_e32 v29, v25, v6
	v_mul_f32_e32 v8, v17, v3
	ds_read_b128 v[0:3], v46 offset:304
	ds_read_b128 v[4:7], v46 offset:816
	buffer_load_dword v15, off, s[28:31], 0 offset:180 ; 4-byte Folded Reload
	buffer_load_dword v59, off, s[28:31], 0 offset:32 ; 4-byte Folded Reload
	s_waitcnt lgkmcnt(0)
	v_fma_f32 v4, v13, v4, v60
	v_fmac_f32_e32 v9, v0, v4
	buffer_load_dword v4, off, s[28:31], 0 offset:108 ; 4-byte Folded Reload
	s_waitcnt vmcnt(2)
	v_fma_f32 v0, v14, v5, v15
	v_fmac_f32_e32 v9, v1, v0
	s_waitcnt vmcnt(0)
	v_fma_f32 v0, v12, v6, v4
	v_fmac_f32_e32 v9, v2, v0
	v_fma_f32 v0, v8, v7, v59
	v_fmac_f32_e32 v9, v3, v0
	ds_read_b128 v[0:3], v46 offset:560
	s_waitcnt lgkmcnt(0)
	v_fmac_f32_e32 v13, v60, v0
	v_fmac_f32_e32 v14, v15, v1
	;; [unrolled: 1-line block ×4, first 2 shown]
	ds_read_b128 v[0:3], v46 offset:64
	buffer_store_dword v13, off, s[28:31], 0 offset:176 ; 4-byte Folded Spill
	buffer_store_dword v14, off, s[28:31], 0 offset:180 ; 4-byte Folded Spill
	;; [unrolled: 1-line block ×4, first 2 shown]
	s_waitcnt lgkmcnt(0)
	v_mul_f32_e32 v35, v17, v0
	v_mul_f32_e32 v8, v17, v1
	;; [unrolled: 1-line block ×4, first 2 shown]
	ds_read_b128 v[0:3], v46 offset:320
	ds_read_b128 v[4:7], v46 offset:832
	buffer_load_dword v14, off, s[28:31], 0 offset:256 ; 4-byte Folded Reload
	buffer_load_dword v13, off, s[28:31], 0 offset:36 ; 4-byte Folded Reload
	;; [unrolled: 1-line block ×3, first 2 shown]
	s_waitcnt vmcnt(2) lgkmcnt(0)
	v_fma_f32 v4, v35, v4, v14
	v_fmac_f32_e32 v9, v0, v4
	buffer_load_dword v4, off, s[28:31], 0 offset:252 ; 4-byte Folded Reload
	s_waitcnt vmcnt(2)
	v_fma_f32 v0, v8, v5, v13
	v_fmac_f32_e32 v9, v1, v0
	s_waitcnt vmcnt(0)
	v_fma_f32 v0, v37, v6, v4
	v_fmac_f32_e32 v9, v2, v0
	v_fma_f32 v0, v12, v7, v60
	v_fmac_f32_e32 v9, v3, v0
	ds_read_b128 v[0:3], v46 offset:576
	s_waitcnt lgkmcnt(0)
	v_fmac_f32_e32 v35, v14, v0
	v_fmac_f32_e32 v8, v13, v1
	;; [unrolled: 1-line block ×4, first 2 shown]
	ds_read_b128 v[0:3], v46 offset:80
	buffer_store_dword v8, off, s[28:31], 0 offset:36 ; 4-byte Folded Spill
	buffer_store_dword v12, off, s[28:31], 0 offset:40 ; 4-byte Folded Spill
	s_waitcnt lgkmcnt(0)
	v_mul_f32_e32 v5, v17, v0
	v_mul_f32_e32 v7, v17, v1
	;; [unrolled: 1-line block ×4, first 2 shown]
	ds_read_b128 v[0:3], v46 offset:336
	ds_read_b128 v[12:15], v46 offset:848
	buffer_load_dword v16, off, s[28:31], 0 offset:248 ; 4-byte Folded Reload
	buffer_load_dword v60, off, s[28:31], 0 offset:236 ; 4-byte Folded Reload
	s_waitcnt vmcnt(1) lgkmcnt(0)
	v_fma_f32 v8, v5, v12, v16
	buffer_load_dword v12, off, s[28:31], 0 offset:244 ; 4-byte Folded Reload
	v_fmac_f32_e32 v9, v0, v8
	buffer_load_dword v8, off, s[28:31], 0 offset:240 ; 4-byte Folded Reload
	s_waitcnt vmcnt(1)
	v_fma_f32 v0, v7, v13, v12
	v_fmac_f32_e32 v9, v1, v0
	s_waitcnt vmcnt(0)
	v_fma_f32 v0, v4, v14, v8
	v_fmac_f32_e32 v9, v2, v0
	v_fma_f32 v0, v6, v15, v60
	v_fmac_f32_e32 v9, v3, v0
	ds_read_b128 v[0:3], v46 offset:592
	s_waitcnt lgkmcnt(0)
	v_fmac_f32_e32 v5, v16, v0
	v_fmac_f32_e32 v7, v12, v1
	;; [unrolled: 1-line block ×4, first 2 shown]
	ds_read_b128 v[0:3], v46 offset:96
	s_waitcnt lgkmcnt(0)
	v_mul_f32_e32 v39, v17, v0
	v_mul_f32_e32 v42, v17, v1
	;; [unrolled: 1-line block ×4, first 2 shown]
	ds_read_b128 v[0:3], v46 offset:352
	ds_read_b128 v[12:15], v46 offset:864
	buffer_load_dword v16, off, s[28:31], 0 offset:232 ; 4-byte Folded Reload
	buffer_load_dword v60, off, s[28:31], 0 offset:220 ; 4-byte Folded Reload
	s_waitcnt vmcnt(1) lgkmcnt(0)
	v_fma_f32 v8, v39, v12, v16
	buffer_load_dword v12, off, s[28:31], 0 offset:228 ; 4-byte Folded Reload
	v_fmac_f32_e32 v9, v0, v8
	buffer_load_dword v8, off, s[28:31], 0 offset:224 ; 4-byte Folded Reload
	s_waitcnt vmcnt(1)
	v_fma_f32 v0, v42, v13, v12
	v_fmac_f32_e32 v9, v1, v0
	s_waitcnt vmcnt(0)
	v_fma_f32 v0, v43, v14, v8
	v_fmac_f32_e32 v9, v2, v0
	v_fma_f32 v0, v44, v15, v60
	v_fmac_f32_e32 v9, v3, v0
	ds_read_b128 v[0:3], v46 offset:608
	s_waitcnt lgkmcnt(0)
	v_fmac_f32_e32 v39, v16, v0
	v_fmac_f32_e32 v42, v12, v1
	v_fmac_f32_e32 v43, v8, v2
	v_fmac_f32_e32 v44, v60, v3
	ds_read_b128 v[0:3], v46 offset:112
	s_waitcnt lgkmcnt(0)
	v_mul_f32_e32 v45, v17, v0
	v_mul_f32_e32 v47, v17, v1
	v_mul_f32_e32 v48, v17, v2
	v_mul_f32_e32 v49, v17, v3
	ds_read_b128 v[0:3], v46 offset:368
	ds_read_b128 v[12:15], v46 offset:880
	buffer_load_dword v18, off, s[28:31], 0 offset:212 ; 4-byte Folded Reload
	buffer_load_dword v16, off, s[28:31], 0 offset:208 ; 4-byte Folded Reload
	s_waitcnt vmcnt(1) lgkmcnt(0)
	v_fma_f32 v8, v45, v12, v18
	buffer_load_dword v12, off, s[28:31], 0 offset:204 ; 4-byte Folded Reload
	v_fmac_f32_e32 v9, v0, v8
	buffer_load_dword v8, off, s[28:31], 0 offset:200 ; 4-byte Folded Reload
	s_waitcnt vmcnt(2)
	v_fma_f32 v0, v47, v13, v16
	v_fmac_f32_e32 v9, v1, v0
	s_waitcnt vmcnt(1)
	v_fma_f32 v0, v48, v14, v12
	v_fmac_f32_e32 v9, v2, v0
	s_waitcnt vmcnt(0)
	v_fma_f32 v0, v49, v15, v8
	v_fmac_f32_e32 v9, v3, v0
	ds_read_b128 v[0:3], v46 offset:624
	s_waitcnt lgkmcnt(0)
	v_fmac_f32_e32 v45, v18, v0
	v_fmac_f32_e32 v47, v16, v1
	v_fmac_f32_e32 v48, v12, v2
	v_fmac_f32_e32 v49, v8, v3
	ds_read_b128 v[0:3], v46 offset:128
	s_waitcnt lgkmcnt(0)
	v_mul_f32_e32 v50, v17, v0
	v_mul_f32_e32 v51, v17, v1
	v_mul_f32_e32 v52, v17, v2
	v_mul_f32_e32 v53, v17, v3
	ds_read_b128 v[0:3], v46 offset:384
	ds_read_b128 v[12:15], v46 offset:896
	buffer_load_dword v18, off, s[28:31], 0 offset:196 ; 4-byte Folded Reload
	buffer_load_dword v16, off, s[28:31], 0 offset:192 ; 4-byte Folded Reload
	s_waitcnt vmcnt(1) lgkmcnt(0)
	v_fma_f32 v8, v50, v12, v18
	buffer_load_dword v12, off, s[28:31], 0 offset:188 ; 4-byte Folded Reload
	v_fmac_f32_e32 v9, v0, v8
	buffer_load_dword v8, off, s[28:31], 0 offset:184 ; 4-byte Folded Reload
	s_waitcnt vmcnt(2)
	v_fma_f32 v0, v51, v13, v16
	v_fmac_f32_e32 v9, v1, v0
	s_waitcnt vmcnt(1)
	v_fma_f32 v0, v52, v14, v12
	v_fmac_f32_e32 v9, v2, v0
	s_waitcnt vmcnt(0)
	;; [unrolled: 30-line block ×5, first 2 shown]
	v_fma_f32 v0, v32, v15, v8
	v_fmac_f32_e32 v9, v3, v0
	ds_read_b128 v[0:3], v46 offset:688
	s_waitcnt lgkmcnt(0)
	v_fmac_f32_e32 v40, v18, v0
	v_fmac_f32_e32 v31, v16, v1
	;; [unrolled: 1-line block ×4, first 2 shown]
	ds_read_b128 v[0:3], v46 offset:192
	s_waitcnt lgkmcnt(0)
	v_mul_f32_e32 v8, v17, v0
	v_mul_f32_e32 v62, v17, v1
	;; [unrolled: 1-line block ×4, first 2 shown]
	ds_read_b128 v[0:3], v46 offset:448
	ds_read_b128 v[12:15], v46 offset:960
	buffer_load_dword v18, off, s[28:31], 0 offset:104 ; 4-byte Folded Reload
	buffer_load_dword v16, off, s[28:31], 0 offset:100 ; 4-byte Folded Reload
	s_waitcnt vmcnt(1) lgkmcnt(0)
	v_fma_f32 v12, v8, v12, v18
	v_fmac_f32_e32 v9, v0, v12
	buffer_load_dword v12, off, s[28:31], 0 offset:96 ; 4-byte Folded Reload
	s_waitcnt vmcnt(1)
	v_fma_f32 v0, v62, v13, v16
	buffer_load_dword v13, off, s[28:31], 0 offset:216 ; 4-byte Folded Reload
	v_fmac_f32_e32 v9, v1, v0
	s_waitcnt vmcnt(1)
	v_fma_f32 v0, v23, v14, v12
	v_fmac_f32_e32 v9, v2, v0
	s_waitcnt vmcnt(0)
	v_fma_f32 v0, v34, v15, v13
	v_fmac_f32_e32 v9, v3, v0
	ds_read_b128 v[0:3], v46 offset:704
	s_waitcnt lgkmcnt(0)
	v_fmac_f32_e32 v23, v12, v2
	v_fmac_f32_e32 v34, v13, v3
	ds_read_b128 v[12:15], v46 offset:208
	v_fmac_f32_e32 v8, v18, v0
	v_fmac_f32_e32 v62, v16, v1
	s_waitcnt lgkmcnt(0)
	v_mul_f32_e32 v60, v17, v12
	v_mul_f32_e32 v33, v17, v13
	;; [unrolled: 1-line block ×4, first 2 shown]
	ds_read_b128 v[12:15], v46 offset:464
	ds_read_b128 v[18:21], v46 offset:976
	buffer_load_dword v16, off, s[28:31], 0 offset:92 ; 4-byte Folded Reload
	buffer_load_dword v3, off, s[28:31], 0 offset:88 ; 4-byte Folded Reload
	;; [unrolled: 1-line block ×4, first 2 shown]
	s_waitcnt vmcnt(3) lgkmcnt(0)
	v_fma_f32 v0, v60, v18, v16
	v_fmac_f32_e32 v9, v12, v0
	s_waitcnt vmcnt(2)
	v_fma_f32 v0, v33, v19, v3
	v_fmac_f32_e32 v9, v13, v0
	s_waitcnt vmcnt(1)
	;; [unrolled: 3-line block ×3, first 2 shown]
	v_fma_f32 v0, v24, v21, v1
	v_fmac_f32_e32 v9, v15, v0
	ds_read_b128 v[12:15], v46 offset:720
	s_waitcnt lgkmcnt(0)
	v_fmac_f32_e32 v60, v16, v12
	v_fmac_f32_e32 v33, v3, v13
	;; [unrolled: 1-line block ×4, first 2 shown]
	ds_read_b128 v[12:15], v46 offset:224
	buffer_store_dword v24, off, s[28:31], 0 offset:28 ; 4-byte Folded Spill
	ds_read_b128 v[18:21], v46 offset:480
	ds_read_b128 v[24:27], v46 offset:992
	buffer_load_dword v3, off, s[28:31], 0 offset:76 ; 4-byte Folded Reload
	buffer_load_dword v2, off, s[28:31], 0 offset:72 ; 4-byte Folded Reload
	;; [unrolled: 1-line block ×3, first 2 shown]
	s_waitcnt lgkmcnt(2)
	v_mul_f32_e32 v36, v17, v14
	buffer_load_dword v14, off, s[28:31], 0 offset:80 ; 4-byte Folded Reload
	v_mul_f32_e32 v12, v17, v12
	v_mul_f32_e32 v13, v17, v13
	v_mul_f32_e32 v38, v17, v15
	s_waitcnt vmcnt(0) lgkmcnt(0)
	v_fma_f32 v0, v12, v24, v14
	v_fmac_f32_e32 v9, v18, v0
	v_fma_f32 v0, v13, v25, v3
	v_fmac_f32_e32 v9, v19, v0
	;; [unrolled: 2-line block ×4, first 2 shown]
	ds_read_b128 v[18:21], v46 offset:736
	s_waitcnt lgkmcnt(0)
	v_fmac_f32_e32 v12, v14, v18
	v_fmac_f32_e32 v13, v3, v19
	;; [unrolled: 1-line block ×4, first 2 shown]
	ds_read_b128 v[18:21], v46 offset:240
	s_waitcnt lgkmcnt(0)
	v_mul_f32_e32 v14, v17, v18
	v_mul_f32_e32 v15, v17, v19
	;; [unrolled: 1-line block ×4, first 2 shown]
	ds_read_b128 v[18:21], v46 offset:496
	ds_read_b128 v[24:27], v46 offset:1008
	buffer_load_dword v2, off, s[28:31], 0 offset:64 ; 4-byte Folded Reload
	buffer_load_dword v3, off, s[28:31], 0 offset:60 ; 4-byte Folded Reload
	s_waitcnt vmcnt(1) lgkmcnt(0)
	v_fma_f32 v0, v14, v24, v2
	v_fmac_f32_e32 v9, v18, v0
	s_waitcnt vmcnt(0)
	v_fma_f32 v0, v15, v25, v3
	v_mov_b32_e32 v25, v29
	buffer_load_dword v29, off, s[28:31], 0 offset:44 ; 4-byte Folded Reload
	buffer_load_dword v30, off, s[28:31], 0 offset:48 ; 4-byte Folded Reload
	buffer_load_dword v24, off, s[28:31], 0 offset:56 ; 4-byte Folded Reload
	buffer_load_dword v1, off, s[28:31], 0 offset:52 ; 4-byte Folded Reload
	v_fmac_f32_e32 v9, v19, v0
	s_waitcnt vmcnt(3)
	v_add_u32_e32 v29, s2, v29
	s_waitcnt vmcnt(1)
	v_fma_f32 v0, v16, v26, v24
	v_fmac_f32_e32 v9, v20, v0
	s_waitcnt vmcnt(0)
	v_fma_f32 v0, v17, v27, v1
	v_fmac_f32_e32 v9, v21, v0
	ds_read_b128 v[18:21], v46 offset:752
	v_add_co_u32_e32 v0, vcc, s12, v10
	buffer_load_dword v26, off, s[28:31], 0 offset:156 ; 4-byte Folded Reload
	s_waitcnt lgkmcnt(0)
	v_fmac_f32_e32 v17, v1, v21
	v_mov_b32_e32 v1, s13
	v_addc_co_u32_e32 v1, vcc, v1, v11, vcc
	global_store_dword v[0:1], v9, off
	v_fmac_f32_e32 v14, v2, v18
	v_mov_b32_e32 v2, v33
	buffer_load_dword v33, off, s[28:31], 0 offset:180 ; 4-byte Folded Reload
	buffer_load_dword v21, off, s[28:31], 0 offset:128 ; 4-byte Folded Reload
	v_fmac_f32_e32 v15, v3, v19
	v_mov_b32_e32 v3, v60
	buffer_load_dword v60, off, s[28:31], 0 offset:176 ; 4-byte Folded Reload
	buffer_load_dword v27, off, s[28:31], 0 offset:152 ; 4-byte Folded Reload
	v_fmac_f32_e32 v16, v24, v20
	buffer_load_dword v24, off, s[28:31], 0 offset:132 ; 4-byte Folded Reload
	buffer_load_dword v9, off, s[28:31], 0 offset:108 ; 4-byte Folded Reload
	;; [unrolled: 1-line block ×3, first 2 shown]
	v_add_co_u32_e32 v10, vcc, s10, v10
	v_mov_b32_e32 v0, s11
	v_addc_co_u32_e32 v11, vcc, v11, v0, vcc
	s_waitcnt vmcnt(0)
	v_cmp_ge_i32_e32 vcc, v29, v1
	s_or_b64 s[6:7], vcc, s[6:7]
	s_andn2_b64 exec, exec, s[6:7]
	s_cbranch_execnz .LBB0_2
; %bb.3:
	s_or_b64 exec, exec, s[6:7]
	buffer_store_dword v34, off, s[28:31], 0 offset:56 ; 4-byte Folded Spill
	buffer_store_dword v23, off, s[28:31], 0 offset:52 ; 4-byte Folded Spill
	;; [unrolled: 1-line block ×3, first 2 shown]
	buffer_load_dword v18, off, s[28:31], 0 offset:268 ; 4-byte Folded Reload
	buffer_load_dword v19, off, s[28:31], 0 offset:272 ; 4-byte Folded Reload
	;; [unrolled: 1-line block ×3, first 2 shown]
	v_mov_b32_e32 v20, v38
	buffer_load_dword v62, off, s[28:31], 0 offset:36 ; 4-byte Folded Reload
	buffer_load_dword v38, off, s[28:31], 0 offset:40 ; 4-byte Folded Reload
	v_mov_b32_e32 v23, v9
	s_waitcnt vmcnt(3)
	v_mov_b32_e32 v19, v4
	s_waitcnt vmcnt(2)
	v_mov_b32_e32 v4, v0
.LBB0_4:
	s_or_b64 exec, exec, s[4:5]
	s_mul_i32 s0, s2, s1
	v_add_u32_e32 v0, s0, v18
	v_ashrrev_i32_e32 v1, 31, v0
	v_lshlrev_b64 v[9:10], 2, v[0:1]
	buffer_load_dword v1, off, s[28:31], 0 offset:20 ; 4-byte Folded Reload
	v_mov_b32_e32 v11, s13
	v_add_co_u32_e32 v9, vcc, s12, v9
	v_addc_co_u32_e32 v10, vcc, v11, v10, vcc
	s_waitcnt vmcnt(0)
	global_store_dword v[9:10], v1, off
	buffer_load_dword v1, off, s[28:31], 0 offset:8 ; 4-byte Folded Reload
	s_waitcnt vmcnt(0)
	global_store_dword v[9:10], v1, off offset:256
	buffer_load_dword v1, off, s[28:31], 0 offset:4 ; 4-byte Folded Reload
	s_waitcnt vmcnt(0)
	global_store_dword v[9:10], v1, off offset:512
	buffer_load_dword v1, off, s[28:31], 0  ; 4-byte Folded Reload
	s_waitcnt vmcnt(0)
	global_store_dword v[9:10], v1, off offset:768
	buffer_load_dword v1, off, s[28:31], 0 offset:16 ; 4-byte Folded Reload
	s_waitcnt vmcnt(0)
	global_store_dword v[9:10], v1, off offset:1024
	global_store_dword v[9:10], v21, off offset:1280
	;; [unrolled: 1-line block ×5, first 2 shown]
	buffer_load_dword v1, off, s[28:31], 0 offset:24 ; 4-byte Folded Reload
	s_waitcnt vmcnt(0)
	global_store_dword v[9:10], v1, off offset:2304
	global_store_dword v[9:10], v25, off offset:2560
	buffer_load_dword v1, off, s[28:31], 0 offset:12 ; 4-byte Folded Reload
	s_waitcnt vmcnt(0)
	global_store_dword v[9:10], v1, off offset:2816
	global_store_dword v[9:10], v60, off offset:3072
	;; [unrolled: 1-line block ×5, first 2 shown]
	v_add_u32_e32 v9, 0x400, v0
	v_ashrrev_i32_e32 v10, 31, v9
	v_lshlrev_b64 v[9:10], 2, v[9:10]
	v_mov_b32_e32 v1, s13
	v_add_co_u32_e32 v9, vcc, s12, v9
	v_addc_co_u32_e32 v10, vcc, v1, v10, vcc
	global_store_dword v[9:10], v35, off
	v_add_u32_e32 v9, 0x440, v0
	v_ashrrev_i32_e32 v10, 31, v9
	v_lshlrev_b64 v[9:10], 2, v[9:10]
	v_add_u32_e32 v4, 0x580, v0
	v_add_co_u32_e32 v9, vcc, s12, v9
	v_addc_co_u32_e32 v10, vcc, v1, v10, vcc
	global_store_dword v[9:10], v62, off
	v_add_u32_e32 v9, 0x480, v0
	v_ashrrev_i32_e32 v10, 31, v9
	v_lshlrev_b64 v[9:10], 2, v[9:10]
	v_add_co_u32_e32 v9, vcc, s12, v9
	v_addc_co_u32_e32 v10, vcc, v1, v10, vcc
	global_store_dword v[9:10], v37, off
	v_add_u32_e32 v9, 0x4c0, v0
	v_ashrrev_i32_e32 v10, 31, v9
	v_lshlrev_b64 v[9:10], 2, v[9:10]
	;; [unrolled: 6-line block ×4, first 2 shown]
	v_ashrrev_i32_e32 v5, 31, v4
	v_add_co_u32_e32 v9, vcc, s12, v9
	v_lshlrev_b64 v[4:5], 2, v[4:5]
	v_addc_co_u32_e32 v10, vcc, v1, v10, vcc
	v_add_co_u32_e32 v4, vcc, s12, v4
	v_addc_co_u32_e32 v5, vcc, v1, v5, vcc
	global_store_dword v[4:5], v19, off
	v_add_u32_e32 v4, 0x5c0, v0
	v_ashrrev_i32_e32 v5, 31, v4
	v_lshlrev_b64 v[4:5], 2, v[4:5]
	global_store_dword v[9:10], v7, off
	v_add_co_u32_e32 v4, vcc, s12, v4
	v_addc_co_u32_e32 v5, vcc, v1, v5, vcc
	global_store_dword v[4:5], v6, off
	v_add_u32_e32 v4, 0x600, v0
	v_ashrrev_i32_e32 v5, 31, v4
	v_lshlrev_b64 v[4:5], 2, v[4:5]
	v_add_co_u32_e32 v4, vcc, s12, v4
	v_addc_co_u32_e32 v5, vcc, v1, v5, vcc
	global_store_dword v[4:5], v39, off
	v_add_u32_e32 v4, 0x640, v0
	v_ashrrev_i32_e32 v5, 31, v4
	v_lshlrev_b64 v[4:5], 2, v[4:5]
	;; [unrolled: 6-line block ×26, first 2 shown]
	v_add_co_u32_e32 v4, vcc, s12, v4
	v_addc_co_u32_e32 v5, vcc, v1, v5, vcc
	buffer_load_dword v1, off, s[28:31], 0 offset:44 ; 4-byte Folded Reload
	s_waitcnt vmcnt(0)
	global_store_dword v[4:5], v1, off
	v_add_u32_e32 v4, 0xc80, v0
	v_ashrrev_i32_e32 v5, 31, v4
	v_lshlrev_b64 v[4:5], 2, v[4:5]
	v_mov_b32_e32 v1, s13
	v_add_co_u32_e32 v4, vcc, s12, v4
	v_addc_co_u32_e32 v5, vcc, v1, v5, vcc
	buffer_load_dword v1, off, s[28:31], 0 offset:52 ; 4-byte Folded Reload
	s_waitcnt vmcnt(0)
	global_store_dword v[4:5], v1, off
	v_add_u32_e32 v4, 0xcc0, v0
	v_ashrrev_i32_e32 v5, 31, v4
	v_lshlrev_b64 v[4:5], 2, v[4:5]
	v_mov_b32_e32 v1, s13
	;; [unrolled: 9-line block ×3, first 2 shown]
	v_add_co_u32_e32 v4, vcc, s12, v4
	v_addc_co_u32_e32 v5, vcc, v1, v5, vcc
	global_store_dword v[4:5], v3, off
	v_add_u32_e32 v3, 0xd40, v0
	v_ashrrev_i32_e32 v4, 31, v3
	v_lshlrev_b64 v[3:4], 2, v[3:4]
	v_add_co_u32_e32 v3, vcc, s12, v3
	v_addc_co_u32_e32 v4, vcc, v1, v4, vcc
	v_add_u32_e32 v1, 0xd80, v0
	global_store_dword v[3:4], v2, off
	v_ashrrev_i32_e32 v2, 31, v1
	v_lshlrev_b64 v[1:2], 2, v[1:2]
	v_mov_b32_e32 v3, s13
	v_add_co_u32_e32 v1, vcc, s12, v1
	v_addc_co_u32_e32 v2, vcc, v3, v2, vcc
	global_store_dword v[1:2], v22, off
	v_add_u32_e32 v1, 0xdc0, v0
	v_ashrrev_i32_e32 v2, 31, v1
	v_lshlrev_b64 v[1:2], 2, v[1:2]
	v_add_co_u32_e32 v1, vcc, s12, v1
	v_addc_co_u32_e32 v2, vcc, v3, v2, vcc
	buffer_load_dword v3, off, s[28:31], 0 offset:28 ; 4-byte Folded Reload
	s_waitcnt vmcnt(0)
	global_store_dword v[1:2], v3, off
	v_add_u32_e32 v1, 0xe00, v0
	v_ashrrev_i32_e32 v2, 31, v1
	v_lshlrev_b64 v[1:2], 2, v[1:2]
	v_mov_b32_e32 v3, s13
	v_add_co_u32_e32 v1, vcc, s12, v1
	v_addc_co_u32_e32 v2, vcc, v3, v2, vcc
	global_store_dword v[1:2], v12, off
	v_add_u32_e32 v1, 0xe40, v0
	v_ashrrev_i32_e32 v2, 31, v1
	v_lshlrev_b64 v[1:2], 2, v[1:2]
	v_add_co_u32_e32 v1, vcc, s12, v1
	v_addc_co_u32_e32 v2, vcc, v3, v2, vcc
	global_store_dword v[1:2], v13, off
	v_add_u32_e32 v1, 0xe80, v0
	v_ashrrev_i32_e32 v2, 31, v1
	v_lshlrev_b64 v[1:2], 2, v[1:2]
	;; [unrolled: 6-line block ×6, first 2 shown]
	v_add_u32_e32 v0, 0xfc0, v0
	v_add_co_u32_e32 v1, vcc, s12, v1
	v_addc_co_u32_e32 v2, vcc, v3, v2, vcc
	global_store_dword v[1:2], v16, off
	v_ashrrev_i32_e32 v1, 31, v0
	v_lshlrev_b64 v[0:1], 2, v[0:1]
	v_mov_b32_e32 v2, s13
	v_add_co_u32_e32 v0, vcc, s12, v0
	v_addc_co_u32_e32 v1, vcc, v2, v1, vcc
	global_store_dword v[0:1], v17, off
	s_endpgm
	.section	.rodata,"a",@progbits
	.p2align	6, 0x0
	.amdhsa_kernel _ZL12rwkv_wkv_f32ILi64EEviiiiPKfS1_S1_S1_S1_S1_Pf
		.amdhsa_group_segment_fixed_size 1024
		.amdhsa_private_segment_fixed_size 280
		.amdhsa_kernarg_size 72
		.amdhsa_user_sgpr_count 6
		.amdhsa_user_sgpr_private_segment_buffer 1
		.amdhsa_user_sgpr_dispatch_ptr 0
		.amdhsa_user_sgpr_queue_ptr 0
		.amdhsa_user_sgpr_kernarg_segment_ptr 1
		.amdhsa_user_sgpr_dispatch_id 0
		.amdhsa_user_sgpr_flat_scratch_init 0
		.amdhsa_user_sgpr_private_segment_size 0
		.amdhsa_uses_dynamic_stack 0
		.amdhsa_system_sgpr_private_segment_wavefront_offset 1
		.amdhsa_system_sgpr_workgroup_id_x 1
		.amdhsa_system_sgpr_workgroup_id_y 0
		.amdhsa_system_sgpr_workgroup_id_z 0
		.amdhsa_system_sgpr_workgroup_info 0
		.amdhsa_system_vgpr_workitem_id 0
		.amdhsa_next_free_vgpr 64
		.amdhsa_next_free_sgpr 32
		.amdhsa_reserve_vcc 1
		.amdhsa_reserve_flat_scratch 0
		.amdhsa_float_round_mode_32 0
		.amdhsa_float_round_mode_16_64 0
		.amdhsa_float_denorm_mode_32 3
		.amdhsa_float_denorm_mode_16_64 3
		.amdhsa_dx10_clamp 1
		.amdhsa_ieee_mode 1
		.amdhsa_fp16_overflow 0
		.amdhsa_exception_fp_ieee_invalid_op 0
		.amdhsa_exception_fp_denorm_src 0
		.amdhsa_exception_fp_ieee_div_zero 0
		.amdhsa_exception_fp_ieee_overflow 0
		.amdhsa_exception_fp_ieee_underflow 0
		.amdhsa_exception_fp_ieee_inexact 0
		.amdhsa_exception_int_div_zero 0
	.end_amdhsa_kernel
	.section	.text._ZL12rwkv_wkv_f32ILi64EEviiiiPKfS1_S1_S1_S1_S1_Pf,"axG",@progbits,_ZL12rwkv_wkv_f32ILi64EEviiiiPKfS1_S1_S1_S1_S1_Pf,comdat
.Lfunc_end0:
	.size	_ZL12rwkv_wkv_f32ILi64EEviiiiPKfS1_S1_S1_S1_S1_Pf, .Lfunc_end0-_ZL12rwkv_wkv_f32ILi64EEviiiiPKfS1_S1_S1_S1_S1_Pf
                                        ; -- End function
	.set _ZL12rwkv_wkv_f32ILi64EEviiiiPKfS1_S1_S1_S1_S1_Pf.num_vgpr, 64
	.set _ZL12rwkv_wkv_f32ILi64EEviiiiPKfS1_S1_S1_S1_S1_Pf.num_agpr, 0
	.set _ZL12rwkv_wkv_f32ILi64EEviiiiPKfS1_S1_S1_S1_S1_Pf.numbered_sgpr, 32
	.set _ZL12rwkv_wkv_f32ILi64EEviiiiPKfS1_S1_S1_S1_S1_Pf.num_named_barrier, 0
	.set _ZL12rwkv_wkv_f32ILi64EEviiiiPKfS1_S1_S1_S1_S1_Pf.private_seg_size, 280
	.set _ZL12rwkv_wkv_f32ILi64EEviiiiPKfS1_S1_S1_S1_S1_Pf.uses_vcc, 1
	.set _ZL12rwkv_wkv_f32ILi64EEviiiiPKfS1_S1_S1_S1_S1_Pf.uses_flat_scratch, 0
	.set _ZL12rwkv_wkv_f32ILi64EEviiiiPKfS1_S1_S1_S1_S1_Pf.has_dyn_sized_stack, 0
	.set _ZL12rwkv_wkv_f32ILi64EEviiiiPKfS1_S1_S1_S1_S1_Pf.has_recursion, 0
	.set _ZL12rwkv_wkv_f32ILi64EEviiiiPKfS1_S1_S1_S1_S1_Pf.has_indirect_call, 0
	.section	.AMDGPU.csdata,"",@progbits
; Kernel info:
; codeLenInByte = 8144
; TotalNumSgprs: 36
; NumVgprs: 64
; ScratchSize: 280
; MemoryBound: 0
; FloatMode: 240
; IeeeMode: 1
; LDSByteSize: 1024 bytes/workgroup (compile time only)
; SGPRBlocks: 4
; VGPRBlocks: 15
; NumSGPRsForWavesPerEU: 36
; NumVGPRsForWavesPerEU: 64
; Occupancy: 4
; WaveLimiterHint : 1
; COMPUTE_PGM_RSRC2:SCRATCH_EN: 1
; COMPUTE_PGM_RSRC2:USER_SGPR: 6
; COMPUTE_PGM_RSRC2:TRAP_HANDLER: 0
; COMPUTE_PGM_RSRC2:TGID_X_EN: 1
; COMPUTE_PGM_RSRC2:TGID_Y_EN: 0
; COMPUTE_PGM_RSRC2:TGID_Z_EN: 0
; COMPUTE_PGM_RSRC2:TIDIG_COMP_CNT: 0
	.section	.text._ZL12rwkv_wkv_f32ILi128EEviiiiPKfS1_S1_S1_S1_S1_Pf,"axG",@progbits,_ZL12rwkv_wkv_f32ILi128EEviiiiPKfS1_S1_S1_S1_S1_Pf,comdat
	.globl	_ZL12rwkv_wkv_f32ILi128EEviiiiPKfS1_S1_S1_S1_S1_Pf ; -- Begin function _ZL12rwkv_wkv_f32ILi128EEviiiiPKfS1_S1_S1_S1_S1_Pf
	.p2align	8
	.type	_ZL12rwkv_wkv_f32ILi128EEviiiiPKfS1_S1_S1_S1_S1_Pf,@function
_ZL12rwkv_wkv_f32ILi128EEviiiiPKfS1_S1_S1_S1_S1_Pf: ; @_ZL12rwkv_wkv_f32ILi128EEviiiiPKfS1_S1_S1_S1_S1_Pf
; %bb.0:
	s_mov_b64 s[30:31], s[2:3]
	s_mov_b64 s[28:29], s[0:1]
	s_load_dwordx4 s[0:3], s[4:5], 0x0
	s_load_dwordx8 s[16:23], s[4:5], 0x10
	s_load_dwordx8 s[8:15], s[4:5], 0x30
	s_add_u32 s28, s28, s7
	s_addc_u32 s29, s29, 0
	s_waitcnt lgkmcnt(0)
	s_abs_i32 s7, s3
	v_mov_b32_e32 v24, v0
	v_cvt_f32_u32_e32 v0, s7
	s_sub_i32 s14, 0, s7
	s_abs_i32 s5, s6
	s_xor_b32 s4, s6, s3
	v_rcp_iflag_f32_e32 v0, v0
	s_ashr_i32 s4, s4, 31
	v_mov_b32_e32 v4, s11
	v_mul_f32_e32 v0, 0x4f7ffffe, v0
	v_cvt_u32_f32_e32 v0, v0
	v_readfirstlane_b32 s15, v0
	s_mul_i32 s14, s14, s15
	s_mul_hi_u32 s14, s15, s14
	s_add_i32 s15, s15, s14
	s_mul_hi_u32 s14, s5, s15
	s_mul_i32 s15, s14, s7
	s_sub_i32 s5, s5, s15
	s_add_i32 s15, s14, 1
	s_sub_i32 s24, s5, s7
	s_cmp_ge_u32 s5, s7
	s_cselect_b32 s14, s15, s14
	s_cselect_b32 s5, s24, s5
	s_add_i32 s15, s14, 1
	s_cmp_ge_u32 s5, s7
	s_cselect_b32 s5, s15, s14
	s_xor_b32 s5, s5, s4
	s_sub_i32 s4, s5, s4
	s_mul_i32 s3, s4, s3
	s_sub_i32 s3, s6, s3
	s_mul_i32 s5, s2, s4
	s_lshl_b32 s5, s5, 7
	s_lshl_b32 s6, s3, 14
	s_add_i32 s6, s6, s5
	v_add_u32_e32 v20, s6, v24
	v_ashrrev_i32_e32 v21, 31, v20
	v_lshlrev_b64 v[1:2], 2, v[20:21]
	v_mov_b32_e32 v0, s11
	v_add_co_u32_e32 v1, vcc, s10, v1
	v_addc_co_u32_e32 v2, vcc, v0, v2, vcc
	global_load_dword v0, v[1:2], off
                                        ; kill: killed $vgpr1 killed $vgpr2
	s_xor_b32 s5, s1, s0
	s_abs_i32 s0, s0
	s_sub_i32 s7, 0, s0
	s_abs_i32 s6, s1
	s_ashr_i32 s5, s5, 31
	s_waitcnt vmcnt(0)
	buffer_store_dword v0, off, s[28:31], 0 offset:16 ; 4-byte Folded Spill
	global_load_dword v0, v[1:2], off offset:512
	s_waitcnt vmcnt(0)
	buffer_store_dword v0, off, s[28:31], 0 offset:12 ; 4-byte Folded Spill
	global_load_dword v0, v[1:2], off offset:1024
	;; [unrolled: 3-line block ×7, first 2 shown]
	v_mov_b32_e32 v2, s11
	s_waitcnt vmcnt(0)
	buffer_store_dword v0, off, s[28:31], 0 offset:32 ; 4-byte Folded Spill
	v_add_u32_e32 v0, 0x400, v20
	v_ashrrev_i32_e32 v1, 31, v0
	v_lshlrev_b64 v[0:1], 2, v[0:1]
	v_add_co_u32_e32 v0, vcc, s10, v0
	v_addc_co_u32_e32 v1, vcc, v2, v1, vcc
	global_load_dword v0, v[0:1], off
	s_waitcnt vmcnt(0)
	buffer_store_dword v0, off, s[28:31], 0 offset:36 ; 4-byte Folded Spill
	v_add_u32_e32 v0, 0x480, v20
	v_ashrrev_i32_e32 v1, 31, v0
	v_lshlrev_b64 v[0:1], 2, v[0:1]
	v_add_co_u32_e32 v0, vcc, s10, v0
	v_addc_co_u32_e32 v1, vcc, v2, v1, vcc
	global_load_dword v0, v[0:1], off
	;; [unrolled: 8-line block ×12, first 2 shown]
	v_add_u32_e32 v0, 0xa00, v20
	v_ashrrev_i32_e32 v1, 31, v0
	v_lshlrev_b64 v[0:1], 2, v[0:1]
	v_add_co_u32_e32 v0, vcc, s10, v0
	v_addc_co_u32_e32 v1, vcc, v2, v1, vcc
	global_load_dword v5, v[0:1], off
	v_add_u32_e32 v0, 0xa80, v20
	v_ashrrev_i32_e32 v1, 31, v0
	v_lshlrev_b64 v[0:1], 2, v[0:1]
	v_add_co_u32_e32 v0, vcc, s10, v0
	v_addc_co_u32_e32 v1, vcc, v2, v1, vcc
	global_load_dword v10, v[0:1], off
	;; [unrolled: 6-line block ×4, first 2 shown]
	s_waitcnt vmcnt(0)
	buffer_store_dword v0, off, s[28:31], 0 ; 4-byte Folded Spill
	v_add_u32_e32 v0, 0xc00, v20
	v_ashrrev_i32_e32 v1, 31, v0
	v_lshlrev_b64 v[0:1], 2, v[0:1]
	v_add_co_u32_e32 v0, vcc, s10, v0
	v_addc_co_u32_e32 v1, vcc, v2, v1, vcc
	global_load_dword v0, v[0:1], off
	s_waitcnt vmcnt(0)
	buffer_store_dword v0, off, s[28:31], 0 offset:124 ; 4-byte Folded Spill
	v_add_u32_e32 v0, 0xc80, v20
	v_ashrrev_i32_e32 v1, 31, v0
	v_lshlrev_b64 v[0:1], 2, v[0:1]
	v_add_co_u32_e32 v0, vcc, s10, v0
	v_addc_co_u32_e32 v1, vcc, v2, v1, vcc
	global_load_dword v0, v[0:1], off
	s_waitcnt vmcnt(0)
	buffer_store_dword v0, off, s[28:31], 0 offset:116 ; 4-byte Folded Spill
	;; [unrolled: 8-line block ×44, first 2 shown]
	v_add_u32_e32 v0, 0x2200, v20
	v_ashrrev_i32_e32 v1, 31, v0
	v_lshlrev_b64 v[0:1], 2, v[0:1]
	v_add_co_u32_e32 v0, vcc, s10, v0
	v_addc_co_u32_e32 v1, vcc, v2, v1, vcc
	global_load_dword v48, v[0:1], off
	v_add_u32_e32 v0, 0x2280, v20
	v_ashrrev_i32_e32 v1, 31, v0
	v_lshlrev_b64 v[0:1], 2, v[0:1]
	v_add_co_u32_e32 v0, vcc, s10, v0
	v_addc_co_u32_e32 v1, vcc, v2, v1, vcc
	global_load_dword v21, v[0:1], off
	;; [unrolled: 6-line block ×14, first 2 shown]
	s_waitcnt vmcnt(0)
	buffer_store_dword v0, off, s[28:31], 0 offset:300 ; 4-byte Folded Spill
	v_add_u32_e32 v0, 0x2900, v20
	v_ashrrev_i32_e32 v1, 31, v0
	v_lshlrev_b64 v[0:1], 2, v[0:1]
	v_add_co_u32_e32 v0, vcc, s10, v0
	v_addc_co_u32_e32 v1, vcc, v2, v1, vcc
	global_load_dword v0, v[0:1], off
	s_waitcnt vmcnt(0)
	buffer_store_dword v0, off, s[28:31], 0 offset:308 ; 4-byte Folded Spill
	v_add_u32_e32 v0, 0x2980, v20
	v_ashrrev_i32_e32 v1, 31, v0
	v_lshlrev_b64 v[0:1], 2, v[0:1]
	v_add_co_u32_e32 v0, vcc, s10, v0
	v_addc_co_u32_e32 v1, vcc, v2, v1, vcc
	global_load_dword v0, v[0:1], off
	;; [unrolled: 8-line block ×5, first 2 shown]
	v_add_u32_e32 v0, 0x2b80, v20
	v_ashrrev_i32_e32 v1, 31, v0
	v_lshlrev_b64 v[0:1], 2, v[0:1]
	v_add_co_u32_e32 v0, vcc, s10, v0
	v_addc_co_u32_e32 v1, vcc, v2, v1, vcc
	global_load_dword v47, v[0:1], off
	v_add_u32_e32 v0, 0x2c00, v20
	v_ashrrev_i32_e32 v1, 31, v0
	v_lshlrev_b64 v[0:1], 2, v[0:1]
	v_add_co_u32_e32 v0, vcc, s10, v0
	v_addc_co_u32_e32 v1, vcc, v2, v1, vcc
	global_load_dword v6, v[0:1], off
	;; [unrolled: 6-line block ×4, first 2 shown]
	s_waitcnt vmcnt(0)
	buffer_store_dword v0, off, s[28:31], 0 offset:312 ; 4-byte Folded Spill
	v_add_u32_e32 v0, 0x2d80, v20
	v_ashrrev_i32_e32 v1, 31, v0
	v_lshlrev_b64 v[0:1], 2, v[0:1]
	v_add_co_u32_e32 v0, vcc, s10, v0
	v_addc_co_u32_e32 v1, vcc, v2, v1, vcc
	global_load_dword v50, v[0:1], off
	v_add_u32_e32 v0, 0x2e00, v20
	v_ashrrev_i32_e32 v1, 31, v0
	v_lshlrev_b64 v[0:1], 2, v[0:1]
	v_add_co_u32_e32 v0, vcc, s10, v0
	v_addc_co_u32_e32 v1, vcc, v2, v1, vcc
	global_load_dword v52, v[0:1], off
	;; [unrolled: 6-line block ×28, first 2 shown]
	s_waitcnt vmcnt(0)
	buffer_store_dword v0, off, s[28:31], 0 offset:324 ; 4-byte Folded Spill
	v_add_u32_e32 v0, 0x3b80, v20
	v_ashrrev_i32_e32 v1, 31, v0
	v_lshlrev_b64 v[0:1], 2, v[0:1]
	v_add_co_u32_e32 v0, vcc, s10, v0
	v_addc_co_u32_e32 v1, vcc, v4, v1, vcc
	global_load_dword v38, v[0:1], off
	v_add_u32_e32 v0, 0x3c00, v20
	v_ashrrev_i32_e32 v1, 31, v0
	v_lshlrev_b64 v[0:1], 2, v[0:1]
	v_add_co_u32_e32 v0, vcc, s10, v0
	v_addc_co_u32_e32 v1, vcc, v4, v1, vcc
	global_load_dword v15, v[0:1], off
	;; [unrolled: 6-line block ×7, first 2 shown]
	v_add_u32_e32 v0, 0x3f00, v20
	v_ashrrev_i32_e32 v1, 31, v0
	v_lshlrev_b64 v[0:1], 2, v[0:1]
	v_mov_b32_e32 v4, v5
	v_add_co_u32_e32 v0, vcc, s10, v0
	v_mov_b32_e32 v5, s11
	v_addc_co_u32_e32 v1, vcc, v5, v1, vcc
	global_load_dword v22, v[0:1], off
	v_add_u32_e32 v0, 0x3f80, v20
	v_ashrrev_i32_e32 v1, 31, v0
	v_lshlrev_b64 v[0:1], 2, v[0:1]
	v_mov_b32_e32 v5, v10
	v_add_co_u32_e32 v0, vcc, s10, v0
	v_mov_b32_e32 v10, s11
	v_addc_co_u32_e32 v1, vcc, v10, v1, vcc
	global_load_dword v14, v[0:1], off
	v_cvt_f32_u32_e32 v0, s0
	s_waitcnt vmcnt(0)
	s_barrier
	v_rcp_iflag_f32_e32 v0, v0
	v_mul_f32_e32 v0, 0x4f7ffffe, v0
	v_cvt_u32_f32_e32 v0, v0
	v_readfirstlane_b32 s10, v0
	v_lshl_add_u32 v0, s3, 7, v24
	v_ashrrev_i32_e32 v1, 31, v0
	v_lshlrev_b64 v[10:11], 2, v[0:1]
	v_mov_b32_e32 v1, s23
	v_add_co_u32_e32 v10, vcc, s22, v10
	v_addc_co_u32_e32 v11, vcc, v1, v11, vcc
	global_load_dword v1, v[10:11], off
	s_mul_i32 s7, s7, s10
	s_mul_hi_u32 s7, s10, s7
	s_add_i32 s10, s10, s7
	s_mul_hi_u32 s7, s6, s10
	s_mul_i32 s10, s7, s0
	s_sub_i32 s6, s6, s10
	s_add_i32 s10, s7, 1
	s_sub_i32 s11, s6, s0
	s_cmp_ge_u32 s6, s0
	s_cselect_b32 s7, s10, s7
	s_cselect_b32 s6, s11, s6
	s_add_i32 s10, s7, 1
	s_cmp_ge_u32 s6, s0
	s_cselect_b32 s0, s10, s7
	s_xor_b32 s0, s0, s5
	s_sub_i32 s0, s0, s5
	s_mul_i32 s0, s0, s2
	s_mul_i32 s3, s0, s4
	s_add_i32 s4, s4, 1
	s_mul_i32 s0, s0, s4
	v_lshlrev_b32_e32 v10, 2, v24
	v_add_u32_e32 v24, s3, v0
	v_add_u32_e32 v0, s0, v0
	v_cmp_lt_i32_e32 vcc, v24, v0
	s_waitcnt vmcnt(0)
	ds_write_b32 v10, v1 offset:1536
	s_waitcnt lgkmcnt(0)
	s_barrier
	s_and_saveexec_b64 s[4:5], vcc
	s_cbranch_execz .LBB1_4
; %bb.1:
	v_mov_b32_e32 v2, v59
	buffer_store_dword v20, off, s[28:31], 0 offset:536 ; 4-byte Folded Spill
	s_nop 0
	buffer_store_dword v21, off, s[28:31], 0 offset:540 ; 4-byte Folded Spill
	buffer_store_dword v48, off, s[28:31], 0 offset:260 ; 4-byte Folded Spill
	;; [unrolled: 1-line block ×13, first 2 shown]
	v_mov_b32_e32 v1, v5
	buffer_load_dword v2, off, s[28:31], 0  ; 4-byte Folded Reload
	buffer_load_dword v58, off, s[28:31], 0 offset:300 ; 4-byte Folded Reload
	buffer_load_dword v60, off, s[28:31], 0 offset:308 ; 4-byte Folded Reload
	;; [unrolled: 1-line block ×7, first 2 shown]
	v_mov_b32_e32 v59, v25
	v_ashrrev_i32_e32 v25, 31, v24
	v_lshlrev_b64 v[27:28], 2, v[24:25]
	s_ashr_i32 s3, s2, 31
	s_lshl_b64 s[10:11], s[2:3], 2
	s_mov_b64 s[6:7], 0
	v_mov_b32_e32 v20, 0
	v_mov_b32_e32 v34, v4
	;; [unrolled: 1-line block ×6, first 2 shown]
	buffer_store_dword v0, off, s[28:31], 0 offset:528 ; 4-byte Folded Spill
.LBB1_2:                                ; =>This Inner Loop Header: Depth=1
	buffer_store_dword v24, off, s[28:31], 0 offset:300 ; 4-byte Folded Spill
	s_nop 0
	buffer_store_dword v25, off, s[28:31], 0 offset:304 ; 4-byte Folded Spill
	buffer_load_dword v23, off, s[28:31], 0 offset:16 ; 4-byte Folded Reload
	s_nop 0
	buffer_load_dword v24, off, s[28:31], 0 offset:12 ; 4-byte Folded Reload
	buffer_load_dword v22, off, s[28:31], 0 offset:8 ; 4-byte Folded Reload
	;; [unrolled: 1-line block ×5, first 2 shown]
	s_nop 0
	buffer_store_dword v49, off, s[28:31], 0 offset:372 ; 4-byte Folded Spill
	buffer_store_dword v1, off, s[28:31], 0 offset:416 ; 4-byte Folded Spill
	s_waitcnt vmcnt(18)
	buffer_store_dword v2, off, s[28:31], 0 ; 4-byte Folded Spill
	buffer_store_dword v54, off, s[28:31], 0 offset:520 ; 4-byte Folded Spill
	buffer_store_dword v53, off, s[28:31], 0 offset:516 ; 4-byte Folded Spill
	;; [unrolled: 1-line block ×3, first 2 shown]
	s_waitcnt vmcnt(21)
	buffer_store_dword v58, off, s[28:31], 0 offset:508 ; 4-byte Folded Spill
	s_waitcnt vmcnt(21)
	buffer_store_dword v60, off, s[28:31], 0 offset:504 ; 4-byte Folded Spill
	;; [unrolled: 2-line block ×5, first 2 shown]
	buffer_store_dword v62, off, s[28:31], 0 offset:484 ; 4-byte Folded Spill
	buffer_store_dword v47, off, s[28:31], 0 offset:480 ; 4-byte Folded Spill
	;; [unrolled: 1-line block ×4, first 2 shown]
	s_waitcnt vmcnt(25)
	buffer_store_dword v5, off, s[28:31], 0 offset:468 ; 4-byte Folded Spill
	buffer_store_dword v50, off, s[28:31], 0 offset:464 ; 4-byte Folded Spill
	;; [unrolled: 1-line block ×28, first 2 shown]
	s_waitcnt vmcnt(52)
	buffer_store_dword v10, off, s[28:31], 0 offset:344 ; 4-byte Folded Spill
	buffer_store_dword v11, off, s[28:31], 0 offset:340 ; 4-byte Folded Spill
	;; [unrolled: 1-line block ×10, first 2 shown]
	v_add_co_u32_e32 v0, vcc, s16, v27
	v_mov_b32_e32 v1, s17
	v_addc_co_u32_e32 v1, vcc, v1, v28, vcc
	s_waitcnt vmcnt(0)
	s_barrier
	global_load_dword v0, v[0:1], off
	v_mov_b32_e32 v1, s21
	buffer_load_dword v2, off, s[28:31], 0 offset:532 ; 4-byte Folded Reload
	s_waitcnt vmcnt(0)
	ds_write_b32 v2, v0
	v_add_co_u32_e32 v0, vcc, s20, v27
	v_addc_co_u32_e32 v1, vcc, v1, v28, vcc
	global_load_dword v0, v[0:1], off
	v_add_u32_e32 v1, 0x200, v2
	s_waitcnt vmcnt(0)
	ds_write_b32 v1, v0
	v_add_co_u32_e32 v0, vcc, s8, v27
	v_mov_b32_e32 v1, s9
	v_addc_co_u32_e32 v1, vcc, v1, v28, vcc
	global_load_dword v0, v[0:1], off
	v_add_u32_e32 v1, 0x400, v2
	s_waitcnt vmcnt(0)
	ds_write_b32 v1, v0
	s_waitcnt lgkmcnt(0)
	s_barrier
	v_add_co_u32_e32 v0, vcc, s18, v27
	buffer_store_dword v27, off, s[28:31], 0 offset:408 ; 4-byte Folded Spill
	s_nop 0
	buffer_store_dword v28, off, s[28:31], 0 offset:412 ; 4-byte Folded Spill
	v_mov_b32_e32 v1, s19
	v_addc_co_u32_e32 v1, vcc, v1, v28, vcc
	global_load_dword v14, v[0:1], off
	ds_read_b128 v[15:18], v20
	ds_read_b128 v[41:44], v20 offset:16
	ds_read_b128 v[4:7], v20 offset:32
	;; [unrolled: 1-line block ×3, first 2 shown]
	s_waitcnt vmcnt(0) lgkmcnt(3)
	v_mul_f32_e32 v19, v14, v15
	v_mul_f32_e32 v13, v14, v16
	;; [unrolled: 1-line block ×4, first 2 shown]
	ds_read_b128 v[15:18], v20 offset:512
	ds_read_b128 v[45:48], v20 offset:1536
	s_waitcnt lgkmcnt(0)
	v_fma_f32 v8, v19, v45, v23
	v_fma_f32 v49, v15, v8, 0
	;; [unrolled: 1-line block ×3, first 2 shown]
	v_fmac_f32_e32 v49, v16, v8
	v_fma_f32 v8, v12, v47, v22
	v_fmac_f32_e32 v49, v17, v8
	v_fma_f32 v8, v9, v48, v21
	v_fmac_f32_e32 v49, v18, v8
	ds_read_b128 v[15:18], v20 offset:1024
	s_waitcnt lgkmcnt(0)
	v_fmac_f32_e32 v19, v23, v15
	v_fmac_f32_e32 v13, v24, v16
	;; [unrolled: 1-line block ×4, first 2 shown]
	buffer_store_dword v19, off, s[28:31], 0 offset:16 ; 4-byte Folded Spill
	buffer_store_dword v13, off, s[28:31], 0 offset:12 ; 4-byte Folded Spill
	;; [unrolled: 1-line block ×4, first 2 shown]
	ds_read_b128 v[15:18], v20 offset:528
	ds_read_b128 v[37:40], v20 offset:1552
	buffer_load_dword v11, off, s[28:31], 0 offset:28 ; 4-byte Folded Reload
	buffer_load_dword v10, off, s[28:31], 0 offset:32 ; 4-byte Folded Reload
	v_mul_f32_e32 v9, v14, v41
	v_mul_f32_e32 v12, v14, v42
	s_waitcnt lgkmcnt(0)
	v_fma_f32 v8, v9, v37, v25
	v_mul_f32_e32 v13, v14, v43
	v_fmac_f32_e32 v49, v15, v8
	v_fma_f32 v8, v12, v38, v26
	v_mul_f32_e32 v19, v14, v44
	v_fmac_f32_e32 v49, v16, v8
	s_waitcnt vmcnt(1)
	v_fma_f32 v8, v13, v39, v11
	v_fmac_f32_e32 v49, v17, v8
	s_waitcnt vmcnt(0)
	v_fma_f32 v8, v19, v40, v10
	v_fmac_f32_e32 v49, v18, v8
	ds_read_b128 v[15:18], v20 offset:1040
	s_waitcnt lgkmcnt(0)
	v_fmac_f32_e32 v9, v25, v15
	v_fmac_f32_e32 v12, v26, v16
	;; [unrolled: 1-line block ×4, first 2 shown]
	buffer_store_dword v9, off, s[28:31], 0 offset:20 ; 4-byte Folded Spill
	buffer_store_dword v12, off, s[28:31], 0 offset:24 ; 4-byte Folded Spill
	;; [unrolled: 1-line block ×4, first 2 shown]
	v_mul_f32_e32 v9, v14, v4
	v_mul_f32_e32 v12, v14, v5
	;; [unrolled: 1-line block ×4, first 2 shown]
	ds_read_b128 v[4:7], v20 offset:544
	ds_read_b128 v[15:18], v20 offset:1568
	buffer_load_dword v21, off, s[28:31], 0 offset:36 ; 4-byte Folded Reload
	buffer_load_dword v11, off, s[28:31], 0 offset:40 ; 4-byte Folded Reload
	;; [unrolled: 1-line block ×3, first 2 shown]
	s_waitcnt vmcnt(2) lgkmcnt(0)
	v_fma_f32 v8, v9, v15, v21
	v_fmac_f32_e32 v49, v4, v8
	buffer_load_dword v8, off, s[28:31], 0 offset:44 ; 4-byte Folded Reload
	s_waitcnt vmcnt(2)
	v_fma_f32 v4, v12, v16, v11
	v_fmac_f32_e32 v49, v5, v4
	s_waitcnt vmcnt(1)
	v_fma_f32 v4, v13, v17, v10
	v_fmac_f32_e32 v49, v6, v4
	;; [unrolled: 3-line block ×3, first 2 shown]
	ds_read_b128 v[4:7], v20 offset:1056
	s_waitcnt lgkmcnt(0)
	v_fmac_f32_e32 v9, v21, v4
	v_fmac_f32_e32 v12, v11, v5
	;; [unrolled: 1-line block ×4, first 2 shown]
	buffer_store_dword v9, off, s[28:31], 0 offset:36 ; 4-byte Folded Spill
	buffer_store_dword v12, off, s[28:31], 0 offset:40 ; 4-byte Folded Spill
	;; [unrolled: 1-line block ×4, first 2 shown]
	v_mul_f32_e32 v13, v14, v0
	v_mul_f32_e32 v12, v14, v1
	;; [unrolled: 1-line block ×4, first 2 shown]
	ds_read_b128 v[0:3], v20 offset:560
	ds_read_b128 v[4:7], v20 offset:1584
	buffer_load_dword v11, off, s[28:31], 0 offset:76 ; 4-byte Folded Reload
	buffer_load_dword v10, off, s[28:31], 0 offset:72 ; 4-byte Folded Reload
	s_waitcnt vmcnt(1) lgkmcnt(0)
	v_fma_f32 v4, v13, v4, v11
	v_fmac_f32_e32 v49, v0, v4
	s_waitcnt vmcnt(0)
	v_fma_f32 v0, v12, v5, v10
	buffer_load_dword v5, off, s[28:31], 0 offset:68 ; 4-byte Folded Reload
	buffer_load_dword v4, off, s[28:31], 0 offset:64 ; 4-byte Folded Reload
	v_fmac_f32_e32 v49, v1, v0
	s_waitcnt vmcnt(1)
	v_fma_f32 v0, v9, v6, v5
	v_fmac_f32_e32 v49, v2, v0
	s_waitcnt vmcnt(0)
	v_fma_f32 v0, v8, v7, v4
	v_fmac_f32_e32 v49, v3, v0
	ds_read_b128 v[0:3], v20 offset:1072
	s_waitcnt lgkmcnt(0)
	v_fmac_f32_e32 v13, v11, v0
	v_fmac_f32_e32 v12, v10, v1
	;; [unrolled: 1-line block ×4, first 2 shown]
	ds_read_b128 v[0:3], v20 offset:64
	buffer_store_dword v13, off, s[28:31], 0 offset:76 ; 4-byte Folded Spill
	buffer_store_dword v12, off, s[28:31], 0 offset:72 ; 4-byte Folded Spill
	;; [unrolled: 1-line block ×4, first 2 shown]
	s_waitcnt lgkmcnt(0)
	v_mul_f32_e32 v12, v14, v0
	v_mul_f32_e32 v9, v14, v1
	;; [unrolled: 1-line block ×4, first 2 shown]
	ds_read_b128 v[0:3], v20 offset:576
	ds_read_b128 v[4:7], v20 offset:1600
	buffer_load_dword v11, off, s[28:31], 0 offset:60 ; 4-byte Folded Reload
	buffer_load_dword v10, off, s[28:31], 0 offset:56 ; 4-byte Folded Reload
	s_waitcnt vmcnt(1) lgkmcnt(0)
	v_fma_f32 v4, v12, v4, v11
	v_fmac_f32_e32 v49, v0, v4
	s_waitcnt vmcnt(0)
	v_fma_f32 v0, v9, v5, v10
	buffer_load_dword v5, off, s[28:31], 0 offset:48 ; 4-byte Folded Reload
	buffer_load_dword v4, off, s[28:31], 0 offset:372 ; 4-byte Folded Reload
	v_fmac_f32_e32 v49, v1, v0
	s_waitcnt vmcnt(1)
	v_fma_f32 v0, v8, v6, v5
	v_fmac_f32_e32 v49, v2, v0
	s_waitcnt vmcnt(0)
	v_fma_f32 v0, v13, v7, v4
	v_fmac_f32_e32 v49, v3, v0
	ds_read_b128 v[0:3], v20 offset:1088
	s_waitcnt lgkmcnt(0)
	v_fmac_f32_e32 v12, v11, v0
	v_fmac_f32_e32 v9, v10, v1
	;; [unrolled: 1-line block ×4, first 2 shown]
	ds_read_b128 v[0:3], v20 offset:80
	buffer_store_dword v12, off, s[28:31], 0 offset:60 ; 4-byte Folded Spill
	buffer_store_dword v9, off, s[28:31], 0 offset:56 ; 4-byte Folded Spill
	;; [unrolled: 1-line block ×4, first 2 shown]
	s_waitcnt lgkmcnt(0)
	v_mul_f32_e32 v10, v14, v0
	v_mul_f32_e32 v9, v14, v1
	;; [unrolled: 1-line block ×4, first 2 shown]
	ds_read_b128 v[0:3], v20 offset:592
	ds_read_b128 v[4:7], v20 offset:1616
	v_mov_b32_e32 v13, v34
	buffer_load_dword v12, off, s[28:31], 0 offset:416 ; 4-byte Folded Reload
	buffer_load_dword v34, off, s[28:31], 0 ; 4-byte Folded Reload
	s_waitcnt lgkmcnt(0)
	v_fma_f32 v4, v10, v4, v13
	v_fmac_f32_e32 v49, v0, v4
	buffer_load_dword v4, off, s[28:31], 0 offset:256 ; 4-byte Folded Reload
	s_waitcnt vmcnt(2)
	v_fma_f32 v0, v9, v5, v12
	v_fmac_f32_e32 v49, v1, v0
	s_waitcnt vmcnt(0)
	v_fma_f32 v0, v8, v6, v4
	v_fmac_f32_e32 v49, v2, v0
	v_fma_f32 v0, v11, v7, v34
	v_fmac_f32_e32 v49, v3, v0
	ds_read_b128 v[0:3], v20 offset:1104
	s_waitcnt lgkmcnt(0)
	v_fmac_f32_e32 v10, v13, v0
	v_fmac_f32_e32 v9, v12, v1
	;; [unrolled: 1-line block ×4, first 2 shown]
	ds_read_b128 v[0:3], v20 offset:96
	buffer_store_dword v10, off, s[28:31], 0 offset:496 ; 4-byte Folded Spill
	buffer_store_dword v9, off, s[28:31], 0 offset:416 ; 4-byte Folded Spill
	;; [unrolled: 1-line block ×3, first 2 shown]
	buffer_store_dword v11, off, s[28:31], 0 ; 4-byte Folded Spill
	s_waitcnt lgkmcnt(0)
	v_mul_f32_e32 v12, v14, v0
	v_mul_f32_e32 v8, v14, v1
	v_mul_f32_e32 v13, v14, v2
	v_mul_f32_e32 v9, v14, v3
	ds_read_b128 v[0:3], v20 offset:608
	ds_read_b128 v[4:7], v20 offset:1632
	buffer_load_dword v11, off, s[28:31], 0 offset:124 ; 4-byte Folded Reload
	buffer_load_dword v10, off, s[28:31], 0 offset:116 ; 4-byte Folded Reload
	buffer_load_dword v34, off, s[28:31], 0 offset:120 ; 4-byte Folded Reload
	s_waitcnt vmcnt(2) lgkmcnt(0)
	v_fma_f32 v4, v12, v4, v11
	v_fmac_f32_e32 v49, v0, v4
	buffer_load_dword v4, off, s[28:31], 0 offset:128 ; 4-byte Folded Reload
	s_waitcnt vmcnt(2)
	v_fma_f32 v0, v8, v5, v10
	v_fmac_f32_e32 v49, v1, v0
	s_waitcnt vmcnt(0)
	v_fma_f32 v0, v13, v6, v4
	v_fmac_f32_e32 v49, v2, v0
	v_fma_f32 v0, v9, v7, v34
	v_fmac_f32_e32 v49, v3, v0
	ds_read_b128 v[0:3], v20 offset:1120
	s_waitcnt lgkmcnt(0)
	v_fmac_f32_e32 v12, v11, v0
	v_fmac_f32_e32 v8, v10, v1
	v_fmac_f32_e32 v13, v4, v2
	v_fmac_f32_e32 v9, v34, v3
	ds_read_b128 v[0:3], v20 offset:112
	buffer_store_dword v12, off, s[28:31], 0 offset:124 ; 4-byte Folded Spill
	buffer_store_dword v8, off, s[28:31], 0 offset:116 ; 4-byte Folded Spill
	buffer_store_dword v13, off, s[28:31], 0 offset:128 ; 4-byte Folded Spill
	buffer_store_dword v9, off, s[28:31], 0 offset:120 ; 4-byte Folded Spill
	s_waitcnt lgkmcnt(0)
	v_mul_f32_e32 v12, v14, v0
	v_mul_f32_e32 v8, v14, v1
	v_mul_f32_e32 v13, v14, v2
	v_mul_f32_e32 v9, v14, v3
	ds_read_b128 v[0:3], v20 offset:624
	ds_read_b128 v[4:7], v20 offset:1648
	buffer_load_dword v11, off, s[28:31], 0 offset:140 ; 4-byte Folded Reload
	buffer_load_dword v10, off, s[28:31], 0 offset:132 ; 4-byte Folded Reload
	buffer_load_dword v34, off, s[28:31], 0 offset:136 ; 4-byte Folded Reload
	s_waitcnt vmcnt(2) lgkmcnt(0)
	v_fma_f32 v4, v12, v4, v11
	v_fmac_f32_e32 v49, v0, v4
	buffer_load_dword v4, off, s[28:31], 0 offset:144 ; 4-byte Folded Reload
	s_waitcnt vmcnt(2)
	v_fma_f32 v0, v8, v5, v10
	v_fmac_f32_e32 v49, v1, v0
	s_waitcnt vmcnt(0)
	v_fma_f32 v0, v13, v6, v4
	v_fmac_f32_e32 v49, v2, v0
	v_fma_f32 v0, v9, v7, v34
	v_fmac_f32_e32 v49, v3, v0
	ds_read_b128 v[0:3], v20 offset:1136
	s_waitcnt lgkmcnt(0)
	v_fmac_f32_e32 v12, v11, v0
	v_fmac_f32_e32 v8, v10, v1
	v_fmac_f32_e32 v13, v4, v2
	v_fmac_f32_e32 v9, v34, v3
	ds_read_b128 v[0:3], v20 offset:128
	buffer_store_dword v12, off, s[28:31], 0 offset:140 ; 4-byte Folded Spill
	buffer_store_dword v8, off, s[28:31], 0 offset:132 ; 4-byte Folded Spill
	buffer_store_dword v13, off, s[28:31], 0 offset:144 ; 4-byte Folded Spill
	buffer_store_dword v9, off, s[28:31], 0 offset:136 ; 4-byte Folded Spill
	;; [unrolled: 33-line block ×8, first 2 shown]
	s_waitcnt lgkmcnt(0)
	v_mul_f32_e32 v10, v14, v0
	v_mul_f32_e32 v8, v14, v1
	v_mul_f32_e32 v11, v14, v2
	v_mul_f32_e32 v9, v14, v3
	ds_read_b128 v[0:3], v20 offset:736
	ds_read_b128 v[4:7], v20 offset:1760
	buffer_load_dword v13, off, s[28:31], 0 offset:108 ; 4-byte Folded Reload
	buffer_load_dword v12, off, s[28:31], 0 offset:216 ; 4-byte Folded Reload
	s_waitcnt vmcnt(1) lgkmcnt(0)
	v_fma_f32 v4, v10, v4, v13
	v_fmac_f32_e32 v49, v0, v4
	s_waitcnt vmcnt(0)
	v_fma_f32 v0, v8, v5, v12
	buffer_load_dword v5, off, s[28:31], 0 offset:112 ; 4-byte Folded Reload
	buffer_load_dword v4, off, s[28:31], 0 offset:220 ; 4-byte Folded Reload
	v_fmac_f32_e32 v49, v1, v0
	s_waitcnt vmcnt(1)
	v_fma_f32 v0, v11, v6, v5
	v_fmac_f32_e32 v49, v2, v0
	s_waitcnt vmcnt(0)
	v_fma_f32 v0, v9, v7, v4
	v_fmac_f32_e32 v49, v3, v0
	ds_read_b128 v[0:3], v20 offset:1248
	s_waitcnt lgkmcnt(0)
	v_fmac_f32_e32 v10, v13, v0
	v_fmac_f32_e32 v8, v12, v1
	v_fmac_f32_e32 v11, v5, v2
	v_fmac_f32_e32 v9, v4, v3
	ds_read_b128 v[0:3], v20 offset:240
	buffer_store_dword v10, off, s[28:31], 0 offset:108 ; 4-byte Folded Spill
	buffer_store_dword v8, off, s[28:31], 0 offset:216 ; 4-byte Folded Spill
	buffer_store_dword v11, off, s[28:31], 0 offset:112 ; 4-byte Folded Spill
	buffer_store_dword v9, off, s[28:31], 0 offset:220 ; 4-byte Folded Spill
	s_waitcnt lgkmcnt(0)
	v_mul_f32_e32 v8, v14, v0
	v_mul_f32_e32 v9, v14, v1
	v_mul_f32_e32 v10, v14, v2
	v_mul_f32_e32 v11, v14, v3
	ds_read_b128 v[0:3], v20 offset:752
	ds_read_b128 v[4:7], v20 offset:1776
	buffer_load_dword v13, off, s[28:31], 0 offset:224 ; 4-byte Folded Reload
	buffer_load_dword v12, off, s[28:31], 0 offset:228 ; 4-byte Folded Reload
	s_waitcnt vmcnt(1) lgkmcnt(0)
	v_fma_f32 v4, v8, v4, v13
	v_fmac_f32_e32 v49, v0, v4
	s_waitcnt vmcnt(0)
	v_fma_f32 v0, v9, v5, v12
	buffer_load_dword v5, off, s[28:31], 0 offset:232 ; 4-byte Folded Reload
	buffer_load_dword v4, off, s[28:31], 0 offset:236 ; 4-byte Folded Reload
	v_fmac_f32_e32 v49, v1, v0
	s_waitcnt vmcnt(1)
	v_fma_f32 v0, v10, v6, v5
	v_fmac_f32_e32 v49, v2, v0
	s_waitcnt vmcnt(0)
	v_fma_f32 v0, v11, v7, v4
	v_fmac_f32_e32 v49, v3, v0
	ds_read_b128 v[0:3], v20 offset:1264
	s_waitcnt lgkmcnt(0)
	v_fmac_f32_e32 v8, v13, v0
	v_fmac_f32_e32 v9, v12, v1
	v_fmac_f32_e32 v10, v5, v2
	v_fmac_f32_e32 v11, v4, v3
	ds_read_b128 v[0:3], v20 offset:256
	buffer_store_dword v8, off, s[28:31], 0 offset:224 ; 4-byte Folded Spill
	buffer_store_dword v9, off, s[28:31], 0 offset:228 ; 4-byte Folded Spill
	buffer_store_dword v10, off, s[28:31], 0 offset:232 ; 4-byte Folded Spill
	buffer_store_dword v11, off, s[28:31], 0 offset:236 ; 4-byte Folded Spill
	;; [unrolled: 34-line block ×5, first 2 shown]
	s_waitcnt lgkmcnt(0)
	v_mul_f32_e32 v10, v14, v0
	v_mul_f32_e32 v11, v14, v1
	;; [unrolled: 1-line block ×4, first 2 shown]
	ds_read_b128 v[0:3], v20 offset:816
	ds_read_b128 v[4:7], v20 offset:1840
	buffer_load_dword v9, off, s[28:31], 0 offset:292 ; 4-byte Folded Reload
	buffer_load_dword v8, off, s[28:31], 0 offset:296 ; 4-byte Folded Reload
	s_waitcnt vmcnt(1) lgkmcnt(0)
	v_fma_f32 v4, v10, v4, v9
	v_fmac_f32_e32 v49, v0, v4
	s_waitcnt vmcnt(0)
	v_fma_f32 v0, v11, v5, v8
	buffer_load_dword v5, off, s[28:31], 0 offset:520 ; 4-byte Folded Reload
	buffer_load_dword v4, off, s[28:31], 0 offset:516 ; 4-byte Folded Reload
	v_fmac_f32_e32 v49, v1, v0
	s_waitcnt vmcnt(1)
	v_fma_f32 v0, v54, v6, v5
	v_fmac_f32_e32 v49, v2, v0
	s_waitcnt vmcnt(0)
	v_fma_f32 v0, v53, v7, v4
	v_fmac_f32_e32 v49, v3, v0
	ds_read_b128 v[0:3], v20 offset:1328
	s_waitcnt lgkmcnt(0)
	v_fmac_f32_e32 v10, v9, v0
	v_fmac_f32_e32 v11, v8, v1
	;; [unrolled: 1-line block ×4, first 2 shown]
	ds_read_b128 v[0:3], v20 offset:320
	buffer_store_dword v10, off, s[28:31], 0 offset:292 ; 4-byte Folded Spill
	buffer_store_dword v11, off, s[28:31], 0 offset:296 ; 4-byte Folded Spill
	s_waitcnt lgkmcnt(0)
	v_mul_f32_e32 v59, v14, v0
	v_mul_f32_e32 v58, v14, v1
	;; [unrolled: 1-line block ×4, first 2 shown]
	ds_read_b128 v[0:3], v20 offset:832
	ds_read_b128 v[4:7], v20 offset:1856
	buffer_load_dword v9, off, s[28:31], 0 offset:512 ; 4-byte Folded Reload
	buffer_load_dword v8, off, s[28:31], 0 offset:508 ; 4-byte Folded Reload
	s_waitcnt vmcnt(1) lgkmcnt(0)
	v_fma_f32 v4, v59, v4, v9
	v_fmac_f32_e32 v49, v0, v4
	s_waitcnt vmcnt(0)
	v_fma_f32 v0, v58, v5, v8
	buffer_load_dword v5, off, s[28:31], 0 offset:504 ; 4-byte Folded Reload
	buffer_load_dword v4, off, s[28:31], 0 offset:500 ; 4-byte Folded Reload
	v_fmac_f32_e32 v49, v1, v0
	s_waitcnt vmcnt(1)
	v_fma_f32 v0, v60, v6, v5
	v_fmac_f32_e32 v49, v2, v0
	s_waitcnt vmcnt(0)
	v_fma_f32 v0, v45, v7, v4
	v_fmac_f32_e32 v49, v3, v0
	ds_read_b128 v[0:3], v20 offset:1344
	s_waitcnt lgkmcnt(0)
	v_fmac_f32_e32 v59, v9, v0
	v_fmac_f32_e32 v58, v8, v1
	;; [unrolled: 1-line block ×4, first 2 shown]
	ds_read_b128 v[0:3], v20 offset:336
	s_waitcnt lgkmcnt(0)
	v_mul_f32_e32 v46, v14, v0
	v_mul_f32_e32 v48, v14, v1
	;; [unrolled: 1-line block ×4, first 2 shown]
	ds_read_b128 v[0:3], v20 offset:848
	ds_read_b128 v[4:7], v20 offset:1872
	buffer_load_dword v9, off, s[28:31], 0 offset:492 ; 4-byte Folded Reload
	buffer_load_dword v8, off, s[28:31], 0 offset:488 ; 4-byte Folded Reload
	s_waitcnt vmcnt(1) lgkmcnt(0)
	v_fma_f32 v4, v46, v4, v9
	v_fmac_f32_e32 v49, v0, v4
	s_waitcnt vmcnt(0)
	v_fma_f32 v0, v48, v5, v8
	buffer_load_dword v5, off, s[28:31], 0 offset:484 ; 4-byte Folded Reload
	buffer_load_dword v4, off, s[28:31], 0 offset:480 ; 4-byte Folded Reload
	v_fmac_f32_e32 v49, v1, v0
	s_waitcnt vmcnt(1)
	v_fma_f32 v0, v62, v6, v5
	v_fmac_f32_e32 v49, v2, v0
	s_waitcnt vmcnt(0)
	v_fma_f32 v0, v47, v7, v4
	v_fmac_f32_e32 v49, v3, v0
	ds_read_b128 v[0:3], v20 offset:1360
	s_waitcnt lgkmcnt(0)
	v_fmac_f32_e32 v46, v9, v0
	v_fmac_f32_e32 v48, v8, v1
	v_fmac_f32_e32 v62, v5, v2
	v_fmac_f32_e32 v47, v4, v3
	ds_read_b128 v[0:3], v20 offset:352
	s_waitcnt lgkmcnt(0)
	v_mul_f32_e32 v6, v14, v0
	v_mul_f32_e32 v7, v14, v1
	v_mul_f32_e32 v5, v14, v2
	v_mul_f32_e32 v50, v14, v3
	ds_read_b128 v[0:3], v20 offset:864
	ds_read_b128 v[15:18], v20 offset:1888
	buffer_load_dword v10, off, s[28:31], 0 offset:476 ; 4-byte Folded Reload
	buffer_load_dword v9, off, s[28:31], 0 offset:472 ; 4-byte Folded Reload
	buffer_load_dword v8, off, s[28:31], 0 offset:468 ; 4-byte Folded Reload
	s_waitcnt vmcnt(2) lgkmcnt(0)
	v_fma_f32 v4, v6, v15, v10
	v_fmac_f32_e32 v49, v0, v4
	buffer_load_dword v4, off, s[28:31], 0 offset:464 ; 4-byte Folded Reload
	s_waitcnt vmcnt(2)
	v_fma_f32 v0, v7, v16, v9
	v_fmac_f32_e32 v49, v1, v0
	s_waitcnt vmcnt(1)
	v_fma_f32 v0, v5, v17, v8
	v_fmac_f32_e32 v49, v2, v0
	s_waitcnt vmcnt(0)
	v_fma_f32 v0, v50, v18, v4
	v_fmac_f32_e32 v49, v3, v0
	ds_read_b128 v[0:3], v20 offset:1376
	s_waitcnt lgkmcnt(0)
	v_fmac_f32_e32 v6, v10, v0
	v_fmac_f32_e32 v7, v9, v1
	v_fmac_f32_e32 v5, v8, v2
	v_fmac_f32_e32 v50, v4, v3
	ds_read_b128 v[0:3], v20 offset:368
	s_waitcnt lgkmcnt(0)
	v_mul_f32_e32 v52, v14, v0
	v_mul_f32_e32 v61, v14, v1
	v_mul_f32_e32 v41, v14, v2
	v_mul_f32_e32 v42, v14, v3
	ds_read_b128 v[0:3], v20 offset:880
	ds_read_b128 v[15:18], v20 offset:1904
	buffer_load_dword v10, off, s[28:31], 0 offset:460 ; 4-byte Folded Reload
	buffer_load_dword v9, off, s[28:31], 0 offset:456 ; 4-byte Folded Reload
	buffer_load_dword v8, off, s[28:31], 0 offset:452 ; 4-byte Folded Reload
	s_waitcnt vmcnt(2) lgkmcnt(0)
	v_fma_f32 v4, v52, v15, v10
	v_fmac_f32_e32 v49, v0, v4
	buffer_load_dword v4, off, s[28:31], 0 offset:448 ; 4-byte Folded Reload
	s_waitcnt vmcnt(2)
	v_fma_f32 v0, v61, v16, v9
	;; [unrolled: 30-line block ×3, first 2 shown]
	v_fmac_f32_e32 v49, v1, v0
	s_waitcnt vmcnt(0)
	v_fma_f32 v0, v8, v17, v4
	v_fmac_f32_e32 v49, v2, v0
	v_fma_f32 v0, v44, v18, v11
	v_fmac_f32_e32 v49, v3, v0
	ds_read_b128 v[0:3], v20 offset:1408
	s_waitcnt lgkmcnt(0)
	v_fmac_f32_e32 v51, v10, v0
	v_fmac_f32_e32 v63, v9, v1
	;; [unrolled: 1-line block ×4, first 2 shown]
	ds_read_b128 v[0:3], v20 offset:400
	s_waitcnt lgkmcnt(0)
	v_mul_f32_e32 v34, v14, v0
	v_mul_f32_e32 v9, v14, v1
	;; [unrolled: 1-line block ×4, first 2 shown]
	ds_read_b128 v[0:3], v20 offset:912
	ds_read_b128 v[15:18], v20 offset:1936
	buffer_load_dword v12, off, s[28:31], 0 offset:432 ; 4-byte Folded Reload
	buffer_load_dword v11, off, s[28:31], 0 offset:428 ; 4-byte Folded Reload
	;; [unrolled: 1-line block ×3, first 2 shown]
	s_waitcnt vmcnt(2) lgkmcnt(0)
	v_fma_f32 v4, v34, v15, v12
	v_fmac_f32_e32 v49, v0, v4
	buffer_load_dword v4, off, s[28:31], 0 offset:420 ; 4-byte Folded Reload
	s_waitcnt vmcnt(2)
	v_fma_f32 v0, v9, v16, v11
	v_fmac_f32_e32 v49, v1, v0
	s_waitcnt vmcnt(1)
	v_fma_f32 v0, v29, v17, v10
	v_fmac_f32_e32 v49, v2, v0
	s_waitcnt vmcnt(0)
	v_fma_f32 v0, v30, v18, v4
	v_fmac_f32_e32 v49, v3, v0
	ds_read_b128 v[0:3], v20 offset:1424
	s_waitcnt lgkmcnt(0)
	v_fmac_f32_e32 v34, v12, v0
	v_fmac_f32_e32 v9, v11, v1
	;; [unrolled: 1-line block ×4, first 2 shown]
	ds_read_b128 v[0:3], v20 offset:416
	s_waitcnt lgkmcnt(0)
	v_mul_f32_e32 v31, v14, v0
	v_mul_f32_e32 v36, v14, v1
	;; [unrolled: 1-line block ×4, first 2 shown]
	ds_read_b128 v[0:3], v20 offset:928
	ds_read_b128 v[15:18], v20 offset:1952
	buffer_load_dword v19, off, s[28:31], 0 offset:404 ; 4-byte Folded Reload
	buffer_load_dword v13, off, s[28:31], 0 offset:400 ; 4-byte Folded Reload
	;; [unrolled: 1-line block ×3, first 2 shown]
	s_waitcnt vmcnt(2) lgkmcnt(0)
	v_fma_f32 v4, v31, v15, v19
	v_fmac_f32_e32 v49, v0, v4
	buffer_load_dword v4, off, s[28:31], 0 offset:392 ; 4-byte Folded Reload
	s_waitcnt vmcnt(2)
	v_fma_f32 v0, v36, v16, v13
	v_fmac_f32_e32 v49, v1, v0
	s_waitcnt vmcnt(1)
	v_fma_f32 v0, v39, v17, v12
	v_fmac_f32_e32 v49, v2, v0
	;; [unrolled: 3-line block ×3, first 2 shown]
	ds_read_b128 v[0:3], v20 offset:1440
	s_waitcnt lgkmcnt(0)
	v_fmac_f32_e32 v31, v19, v0
	v_fmac_f32_e32 v36, v13, v1
	;; [unrolled: 1-line block ×4, first 2 shown]
	ds_read_b128 v[0:3], v20 offset:432
	s_waitcnt lgkmcnt(0)
	v_mul_f32_e32 v56, v14, v0
	v_mul_f32_e32 v57, v14, v1
	;; [unrolled: 1-line block ×4, first 2 shown]
	ds_read_b128 v[0:3], v20 offset:944
	ds_read_b128 v[15:18], v20 offset:1968
	buffer_load_dword v22, off, s[28:31], 0 offset:388 ; 4-byte Folded Reload
	buffer_load_dword v21, off, s[28:31], 0 offset:384 ; 4-byte Folded Reload
	s_waitcnt vmcnt(1) lgkmcnt(0)
	v_fma_f32 v4, v56, v15, v22
	buffer_load_dword v15, off, s[28:31], 0 offset:380 ; 4-byte Folded Reload
	v_fmac_f32_e32 v49, v0, v4
	buffer_load_dword v4, off, s[28:31], 0 offset:376 ; 4-byte Folded Reload
	s_waitcnt vmcnt(2)
	v_fma_f32 v0, v57, v16, v21
	v_fmac_f32_e32 v49, v1, v0
	s_waitcnt vmcnt(1)
	v_fma_f32 v0, v12, v17, v15
	v_fmac_f32_e32 v49, v2, v0
	;; [unrolled: 3-line block ×3, first 2 shown]
	ds_read_b128 v[0:3], v20 offset:1456
	s_waitcnt lgkmcnt(0)
	v_fmac_f32_e32 v57, v21, v1
	v_fmac_f32_e32 v12, v15, v2
	;; [unrolled: 1-line block ×3, first 2 shown]
	ds_read_b128 v[1:4], v20 offset:448
	v_fmac_f32_e32 v56, v22, v0
	ds_read_b128 v[15:18], v20 offset:960
	ds_read_b128 v[21:24], v20 offset:1984
	s_waitcnt lgkmcnt(2)
	v_mul_f32_e32 v35, v14, v4
	buffer_load_dword v4, off, s[28:31], 0 offset:368 ; 4-byte Folded Reload
	v_mul_f32_e32 v19, v14, v3
	buffer_load_dword v3, off, s[28:31], 0 offset:364 ; 4-byte Folded Reload
	;; [unrolled: 2-line block ×4, first 2 shown]
	s_waitcnt vmcnt(3) lgkmcnt(0)
	v_fma_f32 v0, v32, v21, v4
	v_fmac_f32_e32 v49, v15, v0
	s_waitcnt vmcnt(2)
	v_fma_f32 v0, v33, v22, v3
	v_fmac_f32_e32 v49, v16, v0
	s_waitcnt vmcnt(1)
	;; [unrolled: 3-line block ×3, first 2 shown]
	v_fma_f32 v0, v35, v24, v1
	v_fmac_f32_e32 v49, v18, v0
	ds_read_b128 v[15:18], v20 offset:1472
	s_waitcnt lgkmcnt(0)
	v_fmac_f32_e32 v32, v4, v15
	v_fmac_f32_e32 v33, v3, v16
	;; [unrolled: 1-line block ×4, first 2 shown]
	ds_read_b128 v[15:18], v20 offset:464
	s_waitcnt lgkmcnt(0)
	v_mul_f32_e32 v37, v14, v15
	v_mul_f32_e32 v43, v14, v16
	;; [unrolled: 1-line block ×4, first 2 shown]
	ds_read_b128 v[15:18], v20 offset:976
	ds_read_b128 v[21:24], v20 offset:2000
	buffer_load_dword v4, off, s[28:31], 0 offset:352 ; 4-byte Folded Reload
	buffer_load_dword v3, off, s[28:31], 0 offset:348 ; 4-byte Folded Reload
	;; [unrolled: 1-line block ×4, first 2 shown]
	s_waitcnt vmcnt(3) lgkmcnt(0)
	v_fma_f32 v0, v37, v21, v4
	v_fmac_f32_e32 v49, v15, v0
	s_waitcnt vmcnt(2)
	v_fma_f32 v0, v43, v22, v3
	v_fmac_f32_e32 v49, v16, v0
	s_waitcnt vmcnt(1)
	;; [unrolled: 3-line block ×3, first 2 shown]
	v_fma_f32 v0, v11, v24, v1
	v_fmac_f32_e32 v49, v18, v0
	ds_read_b128 v[15:18], v20 offset:1488
	s_waitcnt lgkmcnt(0)
	v_fmac_f32_e32 v37, v4, v15
	v_fmac_f32_e32 v43, v3, v16
	;; [unrolled: 1-line block ×4, first 2 shown]
	ds_read_b128 v[15:18], v20 offset:480
	ds_read_b128 v[21:24], v20 offset:992
	;; [unrolled: 1-line block ×3, first 2 shown]
	buffer_load_dword v4, off, s[28:31], 0 offset:336 ; 4-byte Folded Reload
	buffer_load_dword v3, off, s[28:31], 0 offset:332 ; 4-byte Folded Reload
	;; [unrolled: 1-line block ×4, first 2 shown]
	s_waitcnt lgkmcnt(2)
	v_mul_f32_e32 v15, v14, v15
	v_mul_f32_e32 v16, v14, v16
	;; [unrolled: 1-line block ×4, first 2 shown]
	s_waitcnt vmcnt(3) lgkmcnt(0)
	v_fma_f32 v0, v15, v25, v4
	v_fmac_f32_e32 v49, v21, v0
	s_waitcnt vmcnt(2)
	v_fma_f32 v0, v16, v26, v3
	v_fmac_f32_e32 v49, v22, v0
	s_waitcnt vmcnt(1)
	;; [unrolled: 3-line block ×3, first 2 shown]
	v_fma_f32 v0, v18, v28, v1
	v_fmac_f32_e32 v49, v24, v0
	ds_read_b128 v[21:24], v20 offset:1504
	s_waitcnt lgkmcnt(0)
	v_fmac_f32_e32 v15, v4, v21
	v_fmac_f32_e32 v16, v3, v22
	;; [unrolled: 1-line block ×4, first 2 shown]
	ds_read_b128 v[21:24], v20 offset:496
	s_waitcnt lgkmcnt(0)
	v_mul_f32_e32 v4, v14, v21
	v_mul_f32_e32 v38, v14, v22
	v_mul_f32_e32 v40, v14, v23
	v_mul_f32_e32 v14, v14, v24
	ds_read_b128 v[21:24], v20 offset:1008
	ds_read_b128 v[25:28], v20 offset:2032
	buffer_load_dword v2, off, s[28:31], 0 offset:320 ; 4-byte Folded Reload
	buffer_load_dword v3, off, s[28:31], 0 offset:316 ; 4-byte Folded Reload
	;; [unrolled: 1-line block ×3, first 2 shown]
	s_waitcnt vmcnt(2) lgkmcnt(0)
	v_fma_f32 v0, v4, v25, v2
	buffer_load_dword v25, off, s[28:31], 0 offset:312 ; 4-byte Folded Reload
	v_fmac_f32_e32 v49, v21, v0
	s_waitcnt vmcnt(2)
	v_fma_f32 v0, v38, v26, v3
	v_fmac_f32_e32 v49, v22, v0
	s_waitcnt vmcnt(0)
	v_fma_f32 v0, v40, v27, v25
	v_fmac_f32_e32 v49, v23, v0
	v_fma_f32 v0, v14, v28, v1
	v_fmac_f32_e32 v49, v24, v0
	ds_read_b128 v[21:24], v20 offset:1520
	s_waitcnt lgkmcnt(0)
	v_fmac_f32_e32 v4, v2, v21
	buffer_load_dword v2, off, s[28:31], 0  ; 4-byte Folded Reload
	v_fmac_f32_e32 v38, v3, v22
	v_mov_b32_e32 v3, v34
	buffer_load_dword v34, off, s[28:31], 0 offset:496 ; 4-byte Folded Reload
	v_fmac_f32_e32 v40, v25, v23
	v_fmac_f32_e32 v14, v1, v24
	buffer_load_dword v24, off, s[28:31], 0 offset:300 ; 4-byte Folded Reload
	buffer_load_dword v25, off, s[28:31], 0 offset:304 ; 4-byte Folded Reload
	;; [unrolled: 1-line block ×4, first 2 shown]
	v_mov_b32_e32 v1, s13
	s_waitcnt vmcnt(3)
	v_add_u32_e32 v24, s2, v24
	s_waitcnt vmcnt(1)
	v_add_co_u32_e32 v0, vcc, s12, v27
	s_waitcnt vmcnt(0)
	v_addc_co_u32_e32 v1, vcc, v1, v28, vcc
	global_store_dword v[0:1], v49, off
	v_add_co_u32_e32 v27, vcc, s10, v27
	v_mov_b32_e32 v0, s11
	buffer_load_dword v1, off, s[28:31], 0 offset:416 ; 4-byte Folded Reload
	buffer_load_dword v49, off, s[28:31], 0 offset:372 ; 4-byte Folded Reload
	v_addc_co_u32_e32 v28, vcc, v28, v0, vcc
	buffer_load_dword v0, off, s[28:31], 0 offset:528 ; 4-byte Folded Reload
	s_waitcnt vmcnt(0)
	v_cmp_ge_i32_e32 vcc, v24, v0
	s_or_b64 s[6:7], vcc, s[6:7]
	s_andn2_b64 exec, exec, s[6:7]
	s_cbranch_execnz .LBB1_2
; %bb.3:
	s_or_b64 exec, exec, s[6:7]
	buffer_store_dword v10, off, s[28:31], 0 offset:324 ; 4-byte Folded Spill
	buffer_store_dword v5, off, s[28:31], 0 offset:312 ; 4-byte Folded Spill
	;; [unrolled: 1-line block ×7, first 2 shown]
	buffer_load_dword v20, off, s[28:31], 0 offset:536 ; 4-byte Folded Reload
	buffer_load_dword v21, off, s[28:31], 0 offset:540 ; 4-byte Folded Reload
	v_mov_b32_e32 v22, v40
	v_mov_b32_e32 v23, v4
	;; [unrolled: 1-line block ×3, first 2 shown]
	buffer_load_dword v0, off, s[28:31], 0 offset:256 ; 4-byte Folded Reload
	buffer_load_dword v48, off, s[28:31], 0 offset:260 ; 4-byte Folded Reload
	;; [unrolled: 1-line block ×11, first 2 shown]
	v_mov_b32_e32 v26, v38
	v_mov_b32_e32 v38, v11
	;; [unrolled: 1-line block ×4, first 2 shown]
	s_waitcnt vmcnt(10)
	v_mov_b32_e32 v59, v0
.LBB1_4:
	s_or_b64 exec, exec, s[4:5]
	s_mul_i32 s0, s2, s1
	v_add_u32_e32 v0, s0, v20
	v_ashrrev_i32_e32 v1, 31, v0
	v_lshlrev_b64 v[10:11], 2, v[0:1]
	buffer_load_dword v1, off, s[28:31], 0 offset:16 ; 4-byte Folded Reload
	v_mov_b32_e32 v20, s13
	v_add_co_u32_e32 v10, vcc, s12, v10
	v_addc_co_u32_e32 v11, vcc, v20, v11, vcc
	s_waitcnt vmcnt(0)
	global_store_dword v[10:11], v1, off
	buffer_load_dword v1, off, s[28:31], 0 offset:12 ; 4-byte Folded Reload
	s_waitcnt vmcnt(0)
	global_store_dword v[10:11], v1, off offset:512
	buffer_load_dword v1, off, s[28:31], 0 offset:8 ; 4-byte Folded Reload
	s_waitcnt vmcnt(0)
	global_store_dword v[10:11], v1, off offset:1024
	;; [unrolled: 3-line block ×7, first 2 shown]
	v_add_u32_e32 v10, 0x400, v0
	v_ashrrev_i32_e32 v11, 31, v10
	v_lshlrev_b64 v[10:11], 2, v[10:11]
	v_mov_b32_e32 v1, s13
	v_add_co_u32_e32 v10, vcc, s12, v10
	v_addc_co_u32_e32 v11, vcc, v1, v11, vcc
	buffer_load_dword v1, off, s[28:31], 0 offset:36 ; 4-byte Folded Reload
	s_waitcnt vmcnt(0)
	global_store_dword v[10:11], v1, off
	v_add_u32_e32 v10, 0x480, v0
	v_ashrrev_i32_e32 v11, 31, v10
	v_lshlrev_b64 v[10:11], 2, v[10:11]
	v_mov_b32_e32 v1, s13
	v_add_co_u32_e32 v10, vcc, s12, v10
	v_addc_co_u32_e32 v11, vcc, v1, v11, vcc
	buffer_load_dword v1, off, s[28:31], 0 offset:40 ; 4-byte Folded Reload
	s_waitcnt vmcnt(0)
	global_store_dword v[10:11], v1, off
	;; [unrolled: 9-line block ×11, first 2 shown]
	v_add_u32_e32 v10, 0x980, v0
	v_ashrrev_i32_e32 v11, 31, v10
	v_lshlrev_b64 v[10:11], 2, v[10:11]
	v_mov_b32_e32 v1, s13
	v_add_co_u32_e32 v10, vcc, s12, v10
	v_addc_co_u32_e32 v11, vcc, v1, v11, vcc
	global_store_dword v[10:11], v49, off
	v_add_u32_e32 v10, 0xa00, v0
	v_ashrrev_i32_e32 v11, 31, v10
	v_lshlrev_b64 v[10:11], 2, v[10:11]
	v_add_co_u32_e32 v10, vcc, s12, v10
	v_addc_co_u32_e32 v11, vcc, v1, v11, vcc
	global_store_dword v[10:11], v4, off
	v_add_u32_e32 v10, 0xa80, v0
	v_ashrrev_i32_e32 v11, 31, v10
	v_lshlrev_b64 v[10:11], 2, v[10:11]
	;; [unrolled: 6-line block ×4, first 2 shown]
	v_add_co_u32_e32 v10, vcc, s12, v10
	v_addc_co_u32_e32 v11, vcc, v1, v11, vcc
	buffer_load_dword v1, off, s[28:31], 0  ; 4-byte Folded Reload
	s_waitcnt vmcnt(0)
	global_store_dword v[10:11], v1, off
	v_add_u32_e32 v10, 0xc00, v0
	v_ashrrev_i32_e32 v11, 31, v10
	v_lshlrev_b64 v[10:11], 2, v[10:11]
	v_mov_b32_e32 v1, s13
	v_add_co_u32_e32 v10, vcc, s12, v10
	v_addc_co_u32_e32 v11, vcc, v1, v11, vcc
	buffer_load_dword v1, off, s[28:31], 0 offset:124 ; 4-byte Folded Reload
	s_waitcnt vmcnt(0)
	global_store_dword v[10:11], v1, off
	v_add_u32_e32 v10, 0xc80, v0
	v_ashrrev_i32_e32 v11, 31, v10
	v_lshlrev_b64 v[10:11], 2, v[10:11]
	v_mov_b32_e32 v1, s13
	v_add_co_u32_e32 v10, vcc, s12, v10
	v_addc_co_u32_e32 v11, vcc, v1, v11, vcc
	buffer_load_dword v1, off, s[28:31], 0 offset:116 ; 4-byte Folded Reload
	;; [unrolled: 9-line block ×44, first 2 shown]
	s_waitcnt vmcnt(0)
	global_store_dword v[10:11], v1, off
	v_add_u32_e32 v10, 0x2200, v0
	v_ashrrev_i32_e32 v11, 31, v10
	v_lshlrev_b64 v[10:11], 2, v[10:11]
	v_mov_b32_e32 v1, s13
	v_add_co_u32_e32 v10, vcc, s12, v10
	v_addc_co_u32_e32 v11, vcc, v1, v11, vcc
	global_store_dword v[10:11], v48, off
	v_add_u32_e32 v10, 0x2280, v0
	v_ashrrev_i32_e32 v11, 31, v10
	v_lshlrev_b64 v[10:11], 2, v[10:11]
	v_add_co_u32_e32 v10, vcc, s12, v10
	v_addc_co_u32_e32 v11, vcc, v1, v11, vcc
	global_store_dword v[10:11], v21, off
	v_add_u32_e32 v10, 0x2300, v0
	v_ashrrev_i32_e32 v11, 31, v10
	v_lshlrev_b64 v[10:11], 2, v[10:11]
	;; [unrolled: 6-line block ×13, first 2 shown]
	v_add_co_u32_e32 v10, vcc, s12, v10
	v_addc_co_u32_e32 v11, vcc, v1, v11, vcc
	buffer_load_dword v1, off, s[28:31], 0 offset:300 ; 4-byte Folded Reload
	s_waitcnt vmcnt(0)
	global_store_dword v[10:11], v1, off
	v_add_u32_e32 v10, 0x2900, v0
	v_ashrrev_i32_e32 v11, 31, v10
	v_lshlrev_b64 v[10:11], 2, v[10:11]
	v_mov_b32_e32 v1, s13
	v_add_co_u32_e32 v10, vcc, s12, v10
	v_addc_co_u32_e32 v11, vcc, v1, v11, vcc
	buffer_load_dword v1, off, s[28:31], 0 offset:308 ; 4-byte Folded Reload
	s_waitcnt vmcnt(0)
	global_store_dword v[10:11], v1, off
	v_add_u32_e32 v10, 0x2980, v0
	v_ashrrev_i32_e32 v11, 31, v10
	v_lshlrev_b64 v[10:11], 2, v[10:11]
	v_mov_b32_e32 v1, s13
	;; [unrolled: 9-line block ×5, first 2 shown]
	v_add_co_u32_e32 v10, vcc, s12, v10
	v_addc_co_u32_e32 v11, vcc, v1, v11, vcc
	global_store_dword v[10:11], v62, off
	v_add_u32_e32 v10, 0x2b80, v0
	v_ashrrev_i32_e32 v11, 31, v10
	v_lshlrev_b64 v[10:11], 2, v[10:11]
	v_add_co_u32_e32 v10, vcc, s12, v10
	v_addc_co_u32_e32 v11, vcc, v1, v11, vcc
	global_store_dword v[10:11], v47, off
	v_add_u32_e32 v10, 0x2c00, v0
	v_ashrrev_i32_e32 v11, 31, v10
	v_lshlrev_b64 v[10:11], 2, v[10:11]
	v_add_co_u32_e32 v10, vcc, s12, v10
	v_addc_co_u32_e32 v11, vcc, v1, v11, vcc
	global_store_dword v[10:11], v6, off
	v_add_u32_e32 v10, 0x2c80, v0
	v_ashrrev_i32_e32 v11, 31, v10
	v_lshlrev_b64 v[10:11], 2, v[10:11]
	v_add_u32_e32 v6, 0x2e00, v0
	v_add_co_u32_e32 v10, vcc, s12, v10
	v_addc_co_u32_e32 v11, vcc, v1, v11, vcc
	global_store_dword v[10:11], v7, off
	v_add_u32_e32 v10, 0x2d00, v0
	v_ashrrev_i32_e32 v11, 31, v10
	v_lshlrev_b64 v[10:11], 2, v[10:11]
	v_ashrrev_i32_e32 v7, 31, v6
	v_add_co_u32_e32 v10, vcc, s12, v10
	v_addc_co_u32_e32 v11, vcc, v1, v11, vcc
	buffer_load_dword v1, off, s[28:31], 0 offset:312 ; 4-byte Folded Reload
	v_lshlrev_b64 v[6:7], 2, v[6:7]
	s_waitcnt vmcnt(0)
	global_store_dword v[10:11], v1, off
	v_add_u32_e32 v10, 0x2d80, v0
	v_ashrrev_i32_e32 v11, 31, v10
	v_lshlrev_b64 v[10:11], 2, v[10:11]
	v_mov_b32_e32 v1, s13
	v_add_co_u32_e32 v10, vcc, s12, v10
	v_addc_co_u32_e32 v11, vcc, v1, v11, vcc
	v_add_co_u32_e32 v6, vcc, s12, v6
	v_addc_co_u32_e32 v7, vcc, v1, v7, vcc
	global_store_dword v[6:7], v52, off
	v_add_u32_e32 v6, 0x2e80, v0
	v_ashrrev_i32_e32 v7, 31, v6
	v_lshlrev_b64 v[6:7], 2, v[6:7]
	global_store_dword v[10:11], v50, off
	v_add_co_u32_e32 v6, vcc, s12, v6
	v_addc_co_u32_e32 v7, vcc, v1, v7, vcc
	global_store_dword v[6:7], v61, off
	v_add_u32_e32 v6, 0x2f00, v0
	v_ashrrev_i32_e32 v7, 31, v6
	v_lshlrev_b64 v[6:7], 2, v[6:7]
	v_add_co_u32_e32 v6, vcc, s12, v6
	v_addc_co_u32_e32 v7, vcc, v1, v7, vcc
	global_store_dword v[6:7], v41, off
	v_add_u32_e32 v6, 0x2f80, v0
	v_ashrrev_i32_e32 v7, 31, v6
	v_lshlrev_b64 v[6:7], 2, v[6:7]
	;; [unrolled: 6-line block ×8, first 2 shown]
	v_mov_b32_e32 v3, s13
	v_add_co_u32_e32 v6, vcc, s12, v6
	v_addc_co_u32_e32 v7, vcc, v1, v7, vcc
	global_store_dword v[6:7], v9, off
	v_add_u32_e32 v6, 0x3300, v0
	v_ashrrev_i32_e32 v7, 31, v6
	v_lshlrev_b64 v[6:7], 2, v[6:7]
	v_add_co_u32_e32 v6, vcc, s12, v6
	v_addc_co_u32_e32 v7, vcc, v1, v7, vcc
	global_store_dword v[6:7], v29, off
	v_add_u32_e32 v6, 0x3380, v0
	v_ashrrev_i32_e32 v7, 31, v6
	v_lshlrev_b64 v[6:7], 2, v[6:7]
	;; [unrolled: 6-line block ×14, first 2 shown]
	v_add_co_u32_e32 v6, vcc, s12, v6
	v_addc_co_u32_e32 v7, vcc, v1, v7, vcc
	v_add_u32_e32 v1, 0x3a00, v0
	v_ashrrev_i32_e32 v2, 31, v1
	v_lshlrev_b64 v[1:2], 2, v[1:2]
	global_store_dword v[6:7], v35, off
	v_add_co_u32_e32 v1, vcc, s12, v1
	v_addc_co_u32_e32 v2, vcc, v3, v2, vcc
	global_store_dword v[1:2], v37, off
	v_add_u32_e32 v1, 0x3a80, v0
	v_ashrrev_i32_e32 v2, 31, v1
	v_lshlrev_b64 v[1:2], 2, v[1:2]
	v_add_co_u32_e32 v1, vcc, s12, v1
	v_addc_co_u32_e32 v2, vcc, v3, v2, vcc
	global_store_dword v[1:2], v43, off
	v_add_u32_e32 v1, 0x3b00, v0
	v_ashrrev_i32_e32 v2, 31, v1
	v_lshlrev_b64 v[1:2], 2, v[1:2]
	v_add_co_u32_e32 v1, vcc, s12, v1
	v_addc_co_u32_e32 v2, vcc, v3, v2, vcc
	buffer_load_dword v3, off, s[28:31], 0 offset:324 ; 4-byte Folded Reload
	s_waitcnt vmcnt(0)
	global_store_dword v[1:2], v3, off
	v_add_u32_e32 v1, 0x3b80, v0
	v_ashrrev_i32_e32 v2, 31, v1
	v_lshlrev_b64 v[1:2], 2, v[1:2]
	v_mov_b32_e32 v3, s13
	v_add_co_u32_e32 v1, vcc, s12, v1
	v_addc_co_u32_e32 v2, vcc, v3, v2, vcc
	global_store_dword v[1:2], v38, off
	v_add_u32_e32 v1, 0x3c00, v0
	v_ashrrev_i32_e32 v2, 31, v1
	v_lshlrev_b64 v[1:2], 2, v[1:2]
	v_add_co_u32_e32 v1, vcc, s12, v1
	v_addc_co_u32_e32 v2, vcc, v3, v2, vcc
	global_store_dword v[1:2], v15, off
	v_add_u32_e32 v1, 0x3c80, v0
	v_ashrrev_i32_e32 v2, 31, v1
	v_lshlrev_b64 v[1:2], 2, v[1:2]
	;; [unrolled: 6-line block ×7, first 2 shown]
	v_add_u32_e32 v0, 0x3f80, v0
	v_add_co_u32_e32 v1, vcc, s12, v1
	v_addc_co_u32_e32 v2, vcc, v3, v2, vcc
	global_store_dword v[1:2], v22, off
	v_ashrrev_i32_e32 v1, 31, v0
	v_lshlrev_b64 v[0:1], 2, v[0:1]
	v_mov_b32_e32 v2, s13
	v_add_co_u32_e32 v0, vcc, s12, v0
	v_addc_co_u32_e32 v1, vcc, v2, v1, vcc
	global_store_dword v[0:1], v14, off
	s_endpgm
	.section	.rodata,"a",@progbits
	.p2align	6, 0x0
	.amdhsa_kernel _ZL12rwkv_wkv_f32ILi128EEviiiiPKfS1_S1_S1_S1_S1_Pf
		.amdhsa_group_segment_fixed_size 2048
		.amdhsa_private_segment_fixed_size 548
		.amdhsa_kernarg_size 72
		.amdhsa_user_sgpr_count 6
		.amdhsa_user_sgpr_private_segment_buffer 1
		.amdhsa_user_sgpr_dispatch_ptr 0
		.amdhsa_user_sgpr_queue_ptr 0
		.amdhsa_user_sgpr_kernarg_segment_ptr 1
		.amdhsa_user_sgpr_dispatch_id 0
		.amdhsa_user_sgpr_flat_scratch_init 0
		.amdhsa_user_sgpr_private_segment_size 0
		.amdhsa_uses_dynamic_stack 0
		.amdhsa_system_sgpr_private_segment_wavefront_offset 1
		.amdhsa_system_sgpr_workgroup_id_x 1
		.amdhsa_system_sgpr_workgroup_id_y 0
		.amdhsa_system_sgpr_workgroup_id_z 0
		.amdhsa_system_sgpr_workgroup_info 0
		.amdhsa_system_vgpr_workitem_id 0
		.amdhsa_next_free_vgpr 64
		.amdhsa_next_free_sgpr 61
		.amdhsa_reserve_vcc 1
		.amdhsa_reserve_flat_scratch 0
		.amdhsa_float_round_mode_32 0
		.amdhsa_float_round_mode_16_64 0
		.amdhsa_float_denorm_mode_32 3
		.amdhsa_float_denorm_mode_16_64 3
		.amdhsa_dx10_clamp 1
		.amdhsa_ieee_mode 1
		.amdhsa_fp16_overflow 0
		.amdhsa_exception_fp_ieee_invalid_op 0
		.amdhsa_exception_fp_denorm_src 0
		.amdhsa_exception_fp_ieee_div_zero 0
		.amdhsa_exception_fp_ieee_overflow 0
		.amdhsa_exception_fp_ieee_underflow 0
		.amdhsa_exception_fp_ieee_inexact 0
		.amdhsa_exception_int_div_zero 0
	.end_amdhsa_kernel
	.section	.text._ZL12rwkv_wkv_f32ILi128EEviiiiPKfS1_S1_S1_S1_S1_Pf,"axG",@progbits,_ZL12rwkv_wkv_f32ILi128EEviiiiPKfS1_S1_S1_S1_S1_Pf,comdat
.Lfunc_end1:
	.size	_ZL12rwkv_wkv_f32ILi128EEviiiiPKfS1_S1_S1_S1_S1_Pf, .Lfunc_end1-_ZL12rwkv_wkv_f32ILi128EEviiiiPKfS1_S1_S1_S1_S1_Pf
                                        ; -- End function
	.set _ZL12rwkv_wkv_f32ILi128EEviiiiPKfS1_S1_S1_S1_S1_Pf.num_vgpr, 64
	.set _ZL12rwkv_wkv_f32ILi128EEviiiiPKfS1_S1_S1_S1_S1_Pf.num_agpr, 0
	.set _ZL12rwkv_wkv_f32ILi128EEviiiiPKfS1_S1_S1_S1_S1_Pf.numbered_sgpr, 32
	.set _ZL12rwkv_wkv_f32ILi128EEviiiiPKfS1_S1_S1_S1_S1_Pf.num_named_barrier, 0
	.set _ZL12rwkv_wkv_f32ILi128EEviiiiPKfS1_S1_S1_S1_S1_Pf.private_seg_size, 548
	.set _ZL12rwkv_wkv_f32ILi128EEviiiiPKfS1_S1_S1_S1_S1_Pf.uses_vcc, 1
	.set _ZL12rwkv_wkv_f32ILi128EEviiiiPKfS1_S1_S1_S1_S1_Pf.uses_flat_scratch, 0
	.set _ZL12rwkv_wkv_f32ILi128EEviiiiPKfS1_S1_S1_S1_S1_Pf.has_dyn_sized_stack, 0
	.set _ZL12rwkv_wkv_f32ILi128EEviiiiPKfS1_S1_S1_S1_S1_Pf.has_recursion, 0
	.set _ZL12rwkv_wkv_f32ILi128EEviiiiPKfS1_S1_S1_S1_S1_Pf.has_indirect_call, 0
	.section	.AMDGPU.csdata,"",@progbits
; Kernel info:
; codeLenInByte = 18404
; TotalNumSgprs: 36
; NumVgprs: 64
; ScratchSize: 548
; MemoryBound: 0
; FloatMode: 240
; IeeeMode: 1
; LDSByteSize: 2048 bytes/workgroup (compile time only)
; SGPRBlocks: 8
; VGPRBlocks: 15
; NumSGPRsForWavesPerEU: 65
; NumVGPRsForWavesPerEU: 64
; Occupancy: 4
; WaveLimiterHint : 1
; COMPUTE_PGM_RSRC2:SCRATCH_EN: 1
; COMPUTE_PGM_RSRC2:USER_SGPR: 6
; COMPUTE_PGM_RSRC2:TRAP_HANDLER: 0
; COMPUTE_PGM_RSRC2:TGID_X_EN: 1
; COMPUTE_PGM_RSRC2:TGID_Y_EN: 0
; COMPUTE_PGM_RSRC2:TGID_Z_EN: 0
; COMPUTE_PGM_RSRC2:TIDIG_COMP_CNT: 0
	.section	.text._ZL13rwkv_wkv7_f32ILi64EEviiiiPKfS1_S1_S1_S1_S1_S1_Pf,"axG",@progbits,_ZL13rwkv_wkv7_f32ILi64EEviiiiPKfS1_S1_S1_S1_S1_S1_Pf,comdat
	.globl	_ZL13rwkv_wkv7_f32ILi64EEviiiiPKfS1_S1_S1_S1_S1_S1_Pf ; -- Begin function _ZL13rwkv_wkv7_f32ILi64EEviiiiPKfS1_S1_S1_S1_S1_S1_Pf
	.p2align	8
	.type	_ZL13rwkv_wkv7_f32ILi64EEviiiiPKfS1_S1_S1_S1_S1_S1_Pf,@function
_ZL13rwkv_wkv7_f32ILi64EEviiiiPKfS1_S1_S1_S1_S1_S1_Pf: ; @_ZL13rwkv_wkv7_f32ILi64EEviiiiPKfS1_S1_S1_S1_S1_S1_Pf
; %bb.0:
	s_mov_b64 s[30:31], s[2:3]
	s_mov_b64 s[28:29], s[0:1]
	s_load_dwordx4 s[0:3], s[4:5], 0x0
	s_load_dwordx16 s[8:23], s[4:5], 0x10
	s_add_u32 s28, s28, s7
	s_addc_u32 s29, s29, 0
	s_abs_i32 s5, s6
	s_waitcnt lgkmcnt(0)
	s_abs_i32 s7, s3
	v_cvt_f32_u32_e32 v1, s7
	s_sub_i32 s24, 0, s7
	s_xor_b32 s4, s6, s3
	s_ashr_i32 s4, s4, 31
	v_rcp_iflag_f32_e32 v1, v1
	v_mul_f32_e32 v1, 0x4f7ffffe, v1
	v_cvt_u32_f32_e32 v1, v1
	v_readfirstlane_b32 s25, v1
	s_mul_i32 s24, s24, s25
	s_mul_hi_u32 s24, s25, s24
	s_add_i32 s25, s25, s24
	s_mul_hi_u32 s24, s5, s25
	s_mul_i32 s25, s24, s7
	s_sub_i32 s5, s5, s25
	s_add_i32 s25, s24, 1
	s_sub_i32 s26, s5, s7
	s_cmp_ge_u32 s5, s7
	s_cselect_b32 s24, s25, s24
	s_cselect_b32 s5, s26, s5
	s_add_i32 s25, s24, 1
	s_cmp_ge_u32 s5, s7
	s_cselect_b32 s5, s25, s24
	s_xor_b32 s5, s5, s4
	s_sub_i32 s4, s5, s4
	s_mul_i32 s3, s4, s3
	s_sub_i32 s3, s6, s3
	s_mul_i32 s5, s2, s4
	s_lshl_b32 s5, s5, 6
	s_lshl_b32 s6, s3, 12
	s_add_i32 s6, s6, s5
	v_lshl_add_u32 v6, v0, 6, s6
	v_ashrrev_i32_e32 v7, 31, v6
	v_lshlrev_b64 v[1:2], 2, v[6:7]
	s_xor_b32 s5, s1, s0
	v_add_co_u32_e32 v61, vcc, s20, v1
	v_mov_b32_e32 v1, s21
	v_addc_co_u32_e32 v62, vcc, v1, v2, vcc
	global_load_dwordx4 v[17:20], v[61:62], off
	global_load_dwordx4 v[13:16], v[61:62], off offset:16
	global_load_dwordx4 v[1:4], v[61:62], off offset:32
	;; [unrolled: 1-line block ×12, first 2 shown]
	s_abs_i32 s0, s0
	v_cvt_f32_u32_e32 v5, s0
	s_sub_i32 s7, 0, s0
	s_abs_i32 s6, s1
	s_ashr_i32 s5, s5, 31
	v_rcp_iflag_f32_e32 v5, v5
	s_waitcnt vmcnt(0)
	buffer_store_dword v7, off, s[28:31], 0 offset:104 ; 4-byte Folded Spill
	s_nop 0
	buffer_store_dword v8, off, s[28:31], 0 offset:108 ; 4-byte Folded Spill
	buffer_store_dword v9, off, s[28:31], 0 offset:112 ; 4-byte Folded Spill
	;; [unrolled: 1-line block ×3, first 2 shown]
	global_load_dwordx4 v[7:10], v[61:62], off offset:208
	v_mul_f32_e32 v5, 0x4f7ffffe, v5
	v_cvt_u32_f32_e32 v5, v5
	s_waitcnt vmcnt(0)
	buffer_store_dword v7, off, s[28:31], 0 offset:88 ; 4-byte Folded Spill
	s_nop 0
	buffer_store_dword v8, off, s[28:31], 0 offset:92 ; 4-byte Folded Spill
	buffer_store_dword v9, off, s[28:31], 0 offset:96 ; 4-byte Folded Spill
	;; [unrolled: 1-line block ×3, first 2 shown]
	global_load_dwordx4 v[7:10], v[61:62], off offset:224
	v_readfirstlane_b32 s20, v5
	s_mul_i32 s7, s7, s20
	s_mul_hi_u32 s7, s20, s7
	s_add_i32 s20, s20, s7
	s_mul_hi_u32 s7, s6, s20
	s_mul_i32 s20, s7, s0
	s_sub_i32 s6, s6, s20
	s_add_i32 s20, s7, 1
	s_sub_i32 s21, s6, s0
	s_cmp_ge_u32 s6, s0
	s_cselect_b32 s7, s20, s7
	s_cselect_b32 s6, s21, s6
	s_add_i32 s20, s7, 1
	s_cmp_ge_u32 s6, s0
	s_cselect_b32 s0, s20, s7
	s_xor_b32 s0, s0, s5
	s_sub_i32 s0, s0, s5
	s_mul_i32 s0, s0, s2
	s_mul_i32 s5, s0, s4
	s_add_i32 s4, s4, 1
	v_lshl_add_u32 v5, s3, 6, v0
	s_mul_i32 s0, s0, s4
	s_waitcnt vmcnt(0)
	buffer_store_dword v7, off, s[28:31], 0 offset:72 ; 4-byte Folded Spill
	s_nop 0
	buffer_store_dword v8, off, s[28:31], 0 offset:76 ; 4-byte Folded Spill
	buffer_store_dword v9, off, s[28:31], 0 offset:80 ; 4-byte Folded Spill
	buffer_store_dword v10, off, s[28:31], 0 offset:84 ; 4-byte Folded Spill
	global_load_dwordx4 v[9:12], v[61:62], off offset:240
	v_add_u32_e32 v7, s5, v5
	v_add_u32_e32 v5, s0, v5
	v_cmp_lt_i32_e32 vcc, v7, v5
	s_and_saveexec_b64 s[4:5], vcc
	s_cbranch_execz .LBB2_4
; %bb.1:
	buffer_store_dword v6, off, s[28:31], 0 offset:136 ; 4-byte Folded Spill
	s_nop 0
	buffer_store_dword v7, off, s[28:31], 0 offset:140 ; 4-byte Folded Spill
	v_lshlrev_b32_e32 v0, 2, v0
	buffer_store_dword v0, off, s[28:31], 0 offset:132 ; 4-byte Folded Spill
	buffer_store_dword v25, off, s[28:31], 0 offset:24 ; 4-byte Folded Spill
	s_nop 0
	buffer_store_dword v26, off, s[28:31], 0 offset:28 ; 4-byte Folded Spill
	buffer_store_dword v27, off, s[28:31], 0 offset:32 ; 4-byte Folded Spill
	;; [unrolled: 1-line block ×4, first 2 shown]
	s_nop 0
	buffer_store_dword v22, off, s[28:31], 0 offset:60 ; 4-byte Folded Spill
	buffer_store_dword v23, off, s[28:31], 0 offset:64 ; 4-byte Folded Spill
	;; [unrolled: 1-line block ×3, first 2 shown]
	v_mov_b32_e32 v28, v4
	s_ashr_i32 s3, s2, 31
	v_mov_b32_e32 v27, v3
	v_mov_b32_e32 v26, v2
	;; [unrolled: 1-line block ×4, first 2 shown]
	s_lshl_b64 s[20:21], s[2:3], 2
	s_mov_b64 s[6:7], 0
	v_mov_b32_e32 v2, v14
	v_mov_b32_e32 v3, v15
	v_mov_b32_e32 v4, v16
	buffer_store_dword v17, off, s[28:31], 0 offset:40 ; 4-byte Folded Spill
	s_nop 0
	buffer_store_dword v18, off, s[28:31], 0 offset:44 ; 4-byte Folded Spill
	buffer_store_dword v19, off, s[28:31], 0 offset:48 ; 4-byte Folded Spill
	;; [unrolled: 1-line block ×4, first 2 shown]
	v_ashrrev_i32_e32 v8, 31, v7
	v_lshlrev_b64 v[61:62], 2, v[7:8]
.LBB2_2:                                ; =>This Inner Loop Header: Depth=1
	buffer_store_dword v61, off, s[28:31], 0 ; 4-byte Folded Spill
	s_nop 0
	buffer_store_dword v62, off, s[28:31], 0 offset:4 ; 4-byte Folded Spill
	buffer_store_dword v7, off, s[28:31], 0 offset:120 ; 4-byte Folded Spill
	s_nop 0
	buffer_store_dword v8, off, s[28:31], 0 offset:124 ; 4-byte Folded Spill
	s_waitcnt vmcnt(20)
	buffer_store_dword v9, off, s[28:31], 0 offset:8 ; 4-byte Folded Spill
	s_nop 0
	buffer_store_dword v10, off, s[28:31], 0 offset:12 ; 4-byte Folded Spill
	buffer_store_dword v11, off, s[28:31], 0 offset:16 ; 4-byte Folded Spill
	;; [unrolled: 1-line block ×3, first 2 shown]
	buffer_load_dword v5, off, s[28:31], 0  ; 4-byte Folded Reload
	buffer_load_dword v6, off, s[28:31], 0 offset:4 ; 4-byte Folded Reload
	s_nop 0
	buffer_load_dword v9, off, s[28:31], 0  ; 4-byte Folded Reload
	buffer_load_dword v10, off, s[28:31], 0 offset:4 ; 4-byte Folded Reload
	v_mov_b32_e32 v0, s9
	v_mov_b32_e32 v57, 0
	v_add_co_u32_e32 v21, vcc, s8, v61
	v_addc_co_u32_e32 v22, vcc, v0, v62, vcc
	v_mov_b32_e32 v0, s11
	v_add_co_u32_e32 v7, vcc, s10, v61
	v_addc_co_u32_e32 v8, vcc, v0, v62, vcc
	v_mov_b32_e32 v0, s13
	s_waitcnt vmcnt(3)
	v_add_co_u32_e32 v61, vcc, s12, v5
	s_waitcnt vmcnt(0)
	v_addc_co_u32_e32 v62, vcc, v0, v10, vcc
	buffer_load_dword v9, off, s[28:31], 0  ; 4-byte Folded Reload
	buffer_load_dword v10, off, s[28:31], 0 offset:4 ; 4-byte Folded Reload
	buffer_load_dword v10, off, s[28:31], 0 ; 4-byte Folded Reload
	buffer_load_dword v11, off, s[28:31], 0 offset:4 ; 4-byte Folded Reload
	v_mov_b32_e32 v0, s17
	s_waitcnt vmcnt(3)
	v_add_co_u32_e32 v9, vcc, s16, v9
	s_waitcnt vmcnt(0)
	v_addc_co_u32_e32 v10, vcc, v0, v11, vcc
	buffer_load_dword v11, off, s[28:31], 0 ; 4-byte Folded Reload
	buffer_load_dword v12, off, s[28:31], 0 offset:4 ; 4-byte Folded Reload
	buffer_load_dword v5, off, s[28:31], 0  ; 4-byte Folded Reload
	buffer_load_dword v6, off, s[28:31], 0 offset:4 ; 4-byte Folded Reload
	v_mov_b32_e32 v0, s19
	s_waitcnt vmcnt(0)
	s_barrier
	v_add_co_u32_e32 v11, vcc, s18, v11
	v_addc_co_u32_e32 v12, vcc, v0, v6, vcc
	global_load_dword v0, v[21:22], off
	global_load_dword v5, v[7:8], off
	;; [unrolled: 1-line block ×3, first 2 shown]
	s_nop 0
	global_load_dword v7, v[9:10], off
	global_load_dword v8, v[11:12], off
	buffer_load_dword v61, off, s[28:31], 0 offset:132 ; 4-byte Folded Reload
	s_waitcnt vmcnt(0)
	v_add_u32_e32 v9, 0x300, v61
	ds_write_b32 v9, v0
	v_add_u32_e32 v0, 0x400, v61
	ds_write_b32 v0, v5
	;; [unrolled: 2-line block ×3, first 2 shown]
	ds_write_b32 v61, v7
	v_add_u32_e32 v0, 0x100, v61
	v_mov_b32_e32 v9, 0
	ds_write_b32 v0, v8
	s_waitcnt lgkmcnt(0)
	s_barrier
	ds_read_b128 v[5:8], v9
	buffer_load_dword v10, off, s[28:31], 0 offset:40 ; 4-byte Folded Reload
	buffer_load_dword v11, off, s[28:31], 0 offset:44 ; 4-byte Folded Reload
	;; [unrolled: 1-line block ×4, first 2 shown]
	s_waitcnt vmcnt(3) lgkmcnt(0)
	v_fma_f32 v0, v5, v10, 0
	s_waitcnt vmcnt(2)
	v_fmac_f32_e32 v0, v6, v11
	s_waitcnt vmcnt(1)
	v_fmac_f32_e32 v0, v7, v12
	;; [unrolled: 2-line block ×3, first 2 shown]
	ds_read_b128 v[5:8], v9 offset:1024
	v_mov_b32_e32 v9, 0
	s_waitcnt lgkmcnt(0)
	v_mul_f32_e32 v10, v10, v5
	v_mul_f32_e32 v11, v11, v6
	;; [unrolled: 1-line block ×4, first 2 shown]
	buffer_store_dword v10, off, s[28:31], 0 offset:40 ; 4-byte Folded Spill
	s_nop 0
	buffer_store_dword v11, off, s[28:31], 0 offset:44 ; 4-byte Folded Spill
	buffer_store_dword v12, off, s[28:31], 0 offset:48 ; 4-byte Folded Spill
	;; [unrolled: 1-line block ×3, first 2 shown]
	ds_read_b128 v[5:8], v9 offset:16
	s_waitcnt lgkmcnt(0)
	v_fmac_f32_e32 v0, v5, v1
	v_fmac_f32_e32 v0, v6, v2
	;; [unrolled: 1-line block ×4, first 2 shown]
	ds_read_b128 v[5:8], v9 offset:1040
	s_waitcnt lgkmcnt(0)
	v_mul_f32_e32 v1, v1, v5
	v_mul_f32_e32 v2, v2, v6
	;; [unrolled: 1-line block ×4, first 2 shown]
	ds_read_b128 v[5:8], v9 offset:32
	s_waitcnt lgkmcnt(0)
	v_fmac_f32_e32 v0, v5, v25
	v_fmac_f32_e32 v0, v6, v26
	;; [unrolled: 1-line block ×4, first 2 shown]
	ds_read_b128 v[5:8], v9 offset:1056
	s_waitcnt lgkmcnt(0)
	v_mul_f32_e32 v25, v25, v5
	v_mul_f32_e32 v26, v26, v6
	;; [unrolled: 1-line block ×4, first 2 shown]
	ds_read_b128 v[5:8], v9 offset:48
	buffer_load_dword v9, off, s[28:31], 0 offset:56 ; 4-byte Folded Reload
	buffer_load_dword v10, off, s[28:31], 0 offset:60 ; 4-byte Folded Reload
	;; [unrolled: 1-line block ×4, first 2 shown]
	s_waitcnt vmcnt(3) lgkmcnt(0)
	v_fmac_f32_e32 v0, v5, v9
	s_waitcnt vmcnt(2)
	v_fmac_f32_e32 v0, v6, v10
	s_waitcnt vmcnt(1)
	;; [unrolled: 2-line block ×3, first 2 shown]
	v_fmac_f32_e32 v0, v8, v12
	v_mov_b32_e32 v13, v12
	v_mov_b32_e32 v12, v11
	;; [unrolled: 1-line block ×5, first 2 shown]
	ds_read_b128 v[5:8], v9 offset:1072
	s_waitcnt lgkmcnt(0)
	v_mul_f32_e32 v10, v10, v5
	v_mul_f32_e32 v11, v11, v6
	;; [unrolled: 1-line block ×4, first 2 shown]
	buffer_store_dword v10, off, s[28:31], 0 offset:56 ; 4-byte Folded Spill
	s_nop 0
	buffer_store_dword v11, off, s[28:31], 0 offset:60 ; 4-byte Folded Spill
	buffer_store_dword v12, off, s[28:31], 0 offset:64 ; 4-byte Folded Spill
	;; [unrolled: 1-line block ×3, first 2 shown]
	ds_read_b128 v[5:8], v9 offset:64
	s_waitcnt lgkmcnt(0)
	v_fmac_f32_e32 v0, v5, v53
	v_fmac_f32_e32 v0, v6, v54
	v_fmac_f32_e32 v0, v7, v55
	v_fmac_f32_e32 v0, v8, v56
	ds_read_b128 v[5:8], v9 offset:1088
	s_waitcnt lgkmcnt(0)
	v_mul_f32_e32 v53, v53, v5
	v_mul_f32_e32 v54, v54, v6
	v_mul_f32_e32 v55, v55, v7
	v_mul_f32_e32 v56, v56, v8
	ds_read_b128 v[5:8], v57 offset:80
	s_waitcnt lgkmcnt(0)
	v_fmac_f32_e32 v0, v5, v49
	v_fmac_f32_e32 v0, v6, v50
	v_fmac_f32_e32 v0, v7, v51
	v_fmac_f32_e32 v0, v8, v52
	ds_read_b128 v[5:8], v57 offset:1104
	s_waitcnt lgkmcnt(0)
	v_mul_f32_e32 v49, v49, v5
	v_mul_f32_e32 v50, v50, v6
	v_mul_f32_e32 v51, v51, v7
	v_mul_f32_e32 v52, v52, v8
	;; [unrolled: 12-line block ×7, first 2 shown]
	ds_read_b128 v[5:8], v57 offset:176
	buffer_load_dword v9, off, s[28:31], 0 offset:24 ; 4-byte Folded Reload
	buffer_load_dword v10, off, s[28:31], 0 offset:28 ; 4-byte Folded Reload
	;; [unrolled: 1-line block ×4, first 2 shown]
	s_waitcnt vmcnt(3) lgkmcnt(0)
	v_fmac_f32_e32 v0, v5, v9
	s_waitcnt vmcnt(2)
	v_fmac_f32_e32 v0, v6, v10
	s_waitcnt vmcnt(1)
	;; [unrolled: 2-line block ×3, first 2 shown]
	v_fmac_f32_e32 v0, v8, v12
	ds_read_b128 v[5:8], v57 offset:1200
	s_waitcnt lgkmcnt(0)
	v_mul_f32_e32 v9, v9, v5
	v_mul_f32_e32 v10, v10, v6
	;; [unrolled: 1-line block ×4, first 2 shown]
	buffer_store_dword v9, off, s[28:31], 0 offset:24 ; 4-byte Folded Spill
	s_nop 0
	buffer_store_dword v10, off, s[28:31], 0 offset:28 ; 4-byte Folded Spill
	buffer_store_dword v11, off, s[28:31], 0 offset:32 ; 4-byte Folded Spill
	buffer_store_dword v12, off, s[28:31], 0 offset:36 ; 4-byte Folded Spill
	ds_read_b128 v[5:8], v57 offset:192
	buffer_load_dword v17, off, s[28:31], 0 offset:104 ; 4-byte Folded Reload
	buffer_load_dword v18, off, s[28:31], 0 offset:108 ; 4-byte Folded Reload
	buffer_load_dword v19, off, s[28:31], 0 offset:112 ; 4-byte Folded Reload
	buffer_load_dword v20, off, s[28:31], 0 offset:116 ; 4-byte Folded Reload
	s_waitcnt vmcnt(3) lgkmcnt(0)
	v_fmac_f32_e32 v0, v5, v17
	s_waitcnt vmcnt(2)
	v_fmac_f32_e32 v0, v6, v18
	s_waitcnt vmcnt(1)
	v_fmac_f32_e32 v0, v7, v19
	s_waitcnt vmcnt(0)
	v_fmac_f32_e32 v0, v8, v20
	ds_read_b128 v[5:8], v57 offset:1216
	s_waitcnt lgkmcnt(0)
	v_mul_f32_e32 v17, v17, v5
	v_mul_f32_e32 v18, v18, v6
	v_mul_f32_e32 v19, v19, v7
	v_mul_f32_e32 v20, v20, v8
	ds_read_b128 v[5:8], v57 offset:208
	buffer_load_dword v13, off, s[28:31], 0 offset:88 ; 4-byte Folded Reload
	buffer_load_dword v14, off, s[28:31], 0 offset:92 ; 4-byte Folded Reload
	buffer_load_dword v15, off, s[28:31], 0 offset:96 ; 4-byte Folded Reload
	buffer_load_dword v16, off, s[28:31], 0 offset:100 ; 4-byte Folded Reload
	s_waitcnt vmcnt(3) lgkmcnt(0)
	v_fmac_f32_e32 v0, v5, v13
	s_waitcnt vmcnt(2)
	v_fmac_f32_e32 v0, v6, v14
	s_waitcnt vmcnt(1)
	v_fmac_f32_e32 v0, v7, v15
	s_waitcnt vmcnt(0)
	v_fmac_f32_e32 v0, v8, v16
	ds_read_b128 v[5:8], v57 offset:1232
	s_waitcnt lgkmcnt(0)
	v_mul_f32_e32 v13, v13, v5
	v_mul_f32_e32 v14, v14, v6
	v_mul_f32_e32 v15, v15, v7
	v_mul_f32_e32 v16, v16, v8
	ds_read_b128 v[5:8], v57 offset:224
	buffer_load_dword v21, off, s[28:31], 0 offset:72 ; 4-byte Folded Reload
	buffer_load_dword v22, off, s[28:31], 0 offset:76 ; 4-byte Folded Reload
	buffer_load_dword v23, off, s[28:31], 0 offset:80 ; 4-byte Folded Reload
	buffer_load_dword v24, off, s[28:31], 0 offset:84 ; 4-byte Folded Reload
	s_waitcnt vmcnt(3) lgkmcnt(0)
	v_fmac_f32_e32 v0, v5, v21
	s_waitcnt vmcnt(2)
	v_fmac_f32_e32 v0, v6, v22
	s_waitcnt vmcnt(1)
	v_fmac_f32_e32 v0, v7, v23
	s_waitcnt vmcnt(0)
	v_fmac_f32_e32 v0, v8, v24
	ds_read_b128 v[5:8], v57 offset:1248
	s_waitcnt lgkmcnt(0)
	v_mul_f32_e32 v21, v21, v5
	v_mul_f32_e32 v22, v22, v6
	v_mul_f32_e32 v23, v23, v7
	v_mul_f32_e32 v24, v24, v8
	ds_read_b128 v[5:8], v57 offset:240
	buffer_load_dword v60, off, s[28:31], 0 offset:8 ; 4-byte Folded Reload
	buffer_load_dword v61, off, s[28:31], 0 offset:12 ; 4-byte Folded Reload
	;; [unrolled: 1-line block ×4, first 2 shown]
	s_waitcnt vmcnt(3) lgkmcnt(0)
	v_fmac_f32_e32 v0, v5, v60
	s_waitcnt vmcnt(2)
	v_fmac_f32_e32 v0, v6, v61
	s_waitcnt vmcnt(1)
	v_fmac_f32_e32 v0, v7, v62
	s_waitcnt vmcnt(0)
	v_mov_b32_e32 v9, v60
	v_fmac_f32_e32 v0, v8, v63
	v_mov_b32_e32 v10, v61
	v_mov_b32_e32 v11, v62
	;; [unrolled: 1-line block ×4, first 2 shown]
	ds_read_b128 v[5:8], v63 offset:1264
	s_waitcnt lgkmcnt(0)
	v_mul_f32_e32 v9, v9, v5
	v_mul_f32_e32 v10, v10, v6
	;; [unrolled: 1-line block ×4, first 2 shown]
	buffer_store_dword v9, off, s[28:31], 0 offset:8 ; 4-byte Folded Spill
	s_nop 0
	buffer_store_dword v10, off, s[28:31], 0 offset:12 ; 4-byte Folded Spill
	buffer_store_dword v11, off, s[28:31], 0 offset:16 ; 4-byte Folded Spill
	;; [unrolled: 1-line block ×3, first 2 shown]
	buffer_load_dword v7, off, s[28:31], 0  ; 4-byte Folded Reload
	buffer_load_dword v8, off, s[28:31], 0 offset:4 ; 4-byte Folded Reload
	v_mov_b32_e32 v6, s15
	s_waitcnt vmcnt(1)
	v_add_co_u32_e32 v5, vcc, s14, v7
	buffer_load_dword v7, off, s[28:31], 0  ; 4-byte Folded Reload
	buffer_load_dword v8, off, s[28:31], 0 offset:4 ; 4-byte Folded Reload
	s_waitcnt vmcnt(0)
	v_addc_co_u32_e32 v6, vcc, v6, v8, vcc
	global_load_dword v61, v[5:6], off
	ds_read_b128 v[5:8], v63 offset:512
	buffer_load_dword v9, off, s[28:31], 0 offset:40 ; 4-byte Folded Reload
	buffer_load_dword v10, off, s[28:31], 0 offset:44 ; 4-byte Folded Reload
	;; [unrolled: 1-line block ×4, first 2 shown]
	s_waitcnt vmcnt(3) lgkmcnt(0)
	v_fmac_f32_e32 v9, v61, v5
	s_waitcnt vmcnt(2)
	v_fmac_f32_e32 v10, v61, v6
	s_waitcnt vmcnt(1)
	;; [unrolled: 2-line block ×3, first 2 shown]
	v_fmac_f32_e32 v12, v61, v8
	buffer_store_dword v9, off, s[28:31], 0 offset:40 ; 4-byte Folded Spill
	s_nop 0
	buffer_store_dword v10, off, s[28:31], 0 offset:44 ; 4-byte Folded Spill
	buffer_store_dword v11, off, s[28:31], 0 offset:48 ; 4-byte Folded Spill
	;; [unrolled: 1-line block ×3, first 2 shown]
	ds_read_b128 v[5:8], v63 offset:528
	s_waitcnt lgkmcnt(0)
	v_fmac_f32_e32 v1, v61, v5
	v_fmac_f32_e32 v2, v61, v6
	;; [unrolled: 1-line block ×4, first 2 shown]
	ds_read_b128 v[5:8], v63 offset:544
	s_waitcnt lgkmcnt(0)
	v_fmac_f32_e32 v25, v61, v5
	v_fmac_f32_e32 v26, v61, v6
	;; [unrolled: 1-line block ×4, first 2 shown]
	ds_read_b128 v[5:8], v63 offset:560
	buffer_load_dword v57, off, s[28:31], 0 offset:56 ; 4-byte Folded Reload
	buffer_load_dword v58, off, s[28:31], 0 offset:60 ; 4-byte Folded Reload
	;; [unrolled: 1-line block ×4, first 2 shown]
	s_waitcnt vmcnt(3) lgkmcnt(0)
	v_fmac_f32_e32 v57, v61, v5
	s_waitcnt vmcnt(2)
	v_fmac_f32_e32 v58, v61, v6
	s_waitcnt vmcnt(1)
	;; [unrolled: 2-line block ×3, first 2 shown]
	v_fmac_f32_e32 v60, v61, v8
	ds_read_b128 v[5:8], v63 offset:576
	s_waitcnt lgkmcnt(0)
	v_fmac_f32_e32 v53, v61, v5
	v_fmac_f32_e32 v54, v61, v6
	v_fmac_f32_e32 v55, v61, v7
	v_fmac_f32_e32 v56, v61, v8
	ds_read_b128 v[5:8], v63 offset:592
	s_waitcnt lgkmcnt(0)
	v_fmac_f32_e32 v49, v61, v5
	v_fmac_f32_e32 v50, v61, v6
	v_fmac_f32_e32 v51, v61, v7
	v_fmac_f32_e32 v52, v61, v8
	ds_read_b128 v[5:8], v63 offset:608
	s_waitcnt lgkmcnt(0)
	v_fmac_f32_e32 v45, v61, v5
	v_fmac_f32_e32 v46, v61, v6
	v_fmac_f32_e32 v47, v61, v7
	v_fmac_f32_e32 v48, v61, v8
	ds_read_b128 v[5:8], v63 offset:624
	s_waitcnt lgkmcnt(0)
	v_fmac_f32_e32 v41, v61, v5
	v_fmac_f32_e32 v42, v61, v6
	v_fmac_f32_e32 v43, v61, v7
	v_fmac_f32_e32 v44, v61, v8
	ds_read_b128 v[5:8], v63 offset:640
	s_waitcnt lgkmcnt(0)
	v_fmac_f32_e32 v37, v61, v5
	v_fmac_f32_e32 v38, v61, v6
	v_fmac_f32_e32 v39, v61, v7
	v_fmac_f32_e32 v40, v61, v8
	ds_read_b128 v[5:8], v63 offset:656
	s_waitcnt lgkmcnt(0)
	v_fmac_f32_e32 v33, v61, v5
	v_fmac_f32_e32 v34, v61, v6
	v_fmac_f32_e32 v35, v61, v7
	v_fmac_f32_e32 v36, v61, v8
	ds_read_b128 v[5:8], v63 offset:672
	s_waitcnt lgkmcnt(0)
	v_fmac_f32_e32 v29, v61, v5
	v_fmac_f32_e32 v30, v61, v6
	v_fmac_f32_e32 v31, v61, v7
	v_fmac_f32_e32 v32, v61, v8
	ds_read_b128 v[5:8], v63 offset:688
	buffer_load_dword v9, off, s[28:31], 0 offset:24 ; 4-byte Folded Reload
	buffer_load_dword v10, off, s[28:31], 0 offset:28 ; 4-byte Folded Reload
	;; [unrolled: 1-line block ×4, first 2 shown]
	s_waitcnt vmcnt(3) lgkmcnt(0)
	v_fmac_f32_e32 v9, v61, v5
	s_waitcnt vmcnt(2)
	v_fmac_f32_e32 v10, v61, v6
	s_waitcnt vmcnt(1)
	v_fmac_f32_e32 v11, v61, v7
	s_waitcnt vmcnt(0)
	v_fmac_f32_e32 v12, v61, v8
	buffer_store_dword v9, off, s[28:31], 0 offset:24 ; 4-byte Folded Spill
	s_nop 0
	buffer_store_dword v10, off, s[28:31], 0 offset:28 ; 4-byte Folded Spill
	buffer_store_dword v11, off, s[28:31], 0 offset:32 ; 4-byte Folded Spill
	;; [unrolled: 1-line block ×3, first 2 shown]
	ds_read_b128 v[5:8], v63 offset:704
	s_waitcnt lgkmcnt(0)
	v_fmac_f32_e32 v17, v61, v5
	v_fmac_f32_e32 v18, v61, v6
	v_fmac_f32_e32 v19, v61, v7
	v_fmac_f32_e32 v20, v61, v8
	ds_read_b128 v[5:8], v63 offset:720
	s_waitcnt lgkmcnt(0)
	v_fmac_f32_e32 v13, v61, v5
	v_fmac_f32_e32 v14, v61, v6
	v_fmac_f32_e32 v15, v61, v7
	v_fmac_f32_e32 v16, v61, v8
	;; [unrolled: 6-line block ×3, first 2 shown]
	ds_read_b128 v[5:8], v63 offset:752
	buffer_load_dword v9, off, s[28:31], 0 offset:8 ; 4-byte Folded Reload
	buffer_load_dword v10, off, s[28:31], 0 offset:12 ; 4-byte Folded Reload
	buffer_load_dword v11, off, s[28:31], 0 offset:16 ; 4-byte Folded Reload
	buffer_load_dword v12, off, s[28:31], 0 offset:20 ; 4-byte Folded Reload
	s_waitcnt vmcnt(3) lgkmcnt(0)
	v_fmac_f32_e32 v9, v61, v5
	s_waitcnt vmcnt(2)
	v_fmac_f32_e32 v10, v61, v6
	s_waitcnt vmcnt(1)
	;; [unrolled: 2-line block ×3, first 2 shown]
	v_fmac_f32_e32 v12, v61, v8
	buffer_store_dword v9, off, s[28:31], 0 offset:8 ; 4-byte Folded Spill
	s_nop 0
	buffer_store_dword v10, off, s[28:31], 0 offset:12 ; 4-byte Folded Spill
	buffer_store_dword v11, off, s[28:31], 0 offset:16 ; 4-byte Folded Spill
	;; [unrolled: 1-line block ×3, first 2 shown]
	buffer_load_dword v61, off, s[28:31], 0 ; 4-byte Folded Reload
	buffer_load_dword v62, off, s[28:31], 0 offset:4 ; 4-byte Folded Reload
	ds_read_b128 v[5:8], v63 offset:256
	buffer_load_dword v9, off, s[28:31], 0 offset:40 ; 4-byte Folded Reload
	buffer_load_dword v10, off, s[28:31], 0 offset:44 ; 4-byte Folded Reload
	buffer_load_dword v11, off, s[28:31], 0 offset:48 ; 4-byte Folded Reload
	buffer_load_dword v12, off, s[28:31], 0 offset:52 ; 4-byte Folded Reload
	s_waitcnt vmcnt(3) lgkmcnt(0)
	v_fmac_f32_e32 v9, v0, v5
	s_waitcnt vmcnt(2)
	v_fmac_f32_e32 v10, v0, v6
	s_waitcnt vmcnt(1)
	;; [unrolled: 2-line block ×3, first 2 shown]
	v_fmac_f32_e32 v12, v0, v8
	buffer_store_dword v9, off, s[28:31], 0 offset:40 ; 4-byte Folded Spill
	s_nop 0
	buffer_store_dword v10, off, s[28:31], 0 offset:44 ; 4-byte Folded Spill
	buffer_store_dword v11, off, s[28:31], 0 offset:48 ; 4-byte Folded Spill
	;; [unrolled: 1-line block ×3, first 2 shown]
	ds_read_b128 v[5:8], v63 offset:272
	s_waitcnt lgkmcnt(0)
	v_fmac_f32_e32 v1, v0, v5
	v_fmac_f32_e32 v2, v0, v6
	;; [unrolled: 1-line block ×4, first 2 shown]
	ds_read_b128 v[5:8], v63 offset:288
	v_mov_b32_e32 v12, v4
	v_mov_b32_e32 v11, v3
	;; [unrolled: 1-line block ×4, first 2 shown]
	s_waitcnt lgkmcnt(0)
	v_fmac_f32_e32 v25, v0, v5
	v_fmac_f32_e32 v26, v0, v6
	v_fmac_f32_e32 v27, v0, v7
	v_fmac_f32_e32 v28, v0, v8
	ds_read_b128 v[5:8], v63 offset:304
	v_mov_b32_e32 v1, v25
	v_mov_b32_e32 v2, v26
	;; [unrolled: 1-line block ×4, first 2 shown]
	s_waitcnt lgkmcnt(0)
	v_fmac_f32_e32 v57, v0, v5
	v_fmac_f32_e32 v58, v0, v6
	v_fmac_f32_e32 v59, v0, v7
	v_fmac_f32_e32 v60, v0, v8
	ds_read_b128 v[5:8], v63 offset:320
	s_waitcnt lgkmcnt(0)
	v_fmac_f32_e32 v53, v0, v5
	v_fmac_f32_e32 v54, v0, v6
	v_fmac_f32_e32 v55, v0, v7
	v_fmac_f32_e32 v56, v0, v8
	ds_read_b128 v[5:8], v63 offset:336
	;; [unrolled: 6-line block ×8, first 2 shown]
	buffer_load_dword v25, off, s[28:31], 0 offset:24 ; 4-byte Folded Reload
	buffer_load_dword v26, off, s[28:31], 0 offset:28 ; 4-byte Folded Reload
	;; [unrolled: 1-line block ×4, first 2 shown]
	s_waitcnt vmcnt(3) lgkmcnt(0)
	v_fmac_f32_e32 v25, v0, v5
	s_waitcnt vmcnt(2)
	v_fmac_f32_e32 v26, v0, v6
	s_waitcnt vmcnt(1)
	;; [unrolled: 2-line block ×3, first 2 shown]
	v_fmac_f32_e32 v28, v0, v8
	buffer_store_dword v25, off, s[28:31], 0 offset:24 ; 4-byte Folded Spill
	s_nop 0
	buffer_store_dword v26, off, s[28:31], 0 offset:28 ; 4-byte Folded Spill
	buffer_store_dword v27, off, s[28:31], 0 offset:32 ; 4-byte Folded Spill
	buffer_store_dword v28, off, s[28:31], 0 offset:36 ; 4-byte Folded Spill
	ds_read_b128 v[5:8], v63 offset:448
	v_mov_b32_e32 v28, v4
	v_mov_b32_e32 v27, v3
	;; [unrolled: 1-line block ×4, first 2 shown]
	s_waitcnt lgkmcnt(0)
	v_fmac_f32_e32 v17, v0, v5
	v_fmac_f32_e32 v18, v0, v6
	;; [unrolled: 1-line block ×4, first 2 shown]
	ds_read_b128 v[5:8], v63 offset:464
	v_mov_b32_e32 v1, v9
	v_mov_b32_e32 v2, v10
	;; [unrolled: 1-line block ×4, first 2 shown]
	s_waitcnt lgkmcnt(0)
	v_fmac_f32_e32 v13, v0, v5
	v_fmac_f32_e32 v14, v0, v6
	;; [unrolled: 1-line block ×4, first 2 shown]
	ds_read_b128 v[5:8], v63 offset:480
	s_waitcnt lgkmcnt(0)
	v_fmac_f32_e32 v21, v0, v5
	v_fmac_f32_e32 v22, v0, v6
	;; [unrolled: 1-line block ×4, first 2 shown]
	ds_read_b128 v[5:8], v63 offset:496
	buffer_load_dword v9, off, s[28:31], 0 offset:8 ; 4-byte Folded Reload
	buffer_load_dword v10, off, s[28:31], 0 offset:12 ; 4-byte Folded Reload
	;; [unrolled: 1-line block ×4, first 2 shown]
	s_waitcnt vmcnt(3) lgkmcnt(0)
	v_fmac_f32_e32 v9, v0, v5
	s_waitcnt vmcnt(2)
	v_fmac_f32_e32 v10, v0, v6
	s_waitcnt vmcnt(1)
	;; [unrolled: 2-line block ×3, first 2 shown]
	v_fmac_f32_e32 v12, v0, v8
	buffer_store_dword v9, off, s[28:31], 0 offset:8 ; 4-byte Folded Spill
	s_nop 0
	buffer_store_dword v10, off, s[28:31], 0 offset:12 ; 4-byte Folded Spill
	buffer_store_dword v11, off, s[28:31], 0 offset:16 ; 4-byte Folded Spill
	;; [unrolled: 1-line block ×3, first 2 shown]
	ds_read_b128 v[5:8], v63 offset:768
	buffer_load_dword v9, off, s[28:31], 0 offset:40 ; 4-byte Folded Reload
	buffer_load_dword v10, off, s[28:31], 0 offset:44 ; 4-byte Folded Reload
	;; [unrolled: 1-line block ×4, first 2 shown]
	s_waitcnt vmcnt(3) lgkmcnt(0)
	v_fma_f32 v0, v9, v5, 0
	s_waitcnt vmcnt(2)
	v_fmac_f32_e32 v0, v10, v6
	s_waitcnt vmcnt(1)
	v_fmac_f32_e32 v0, v11, v7
	;; [unrolled: 2-line block ×3, first 2 shown]
	ds_read_b128 v[5:8], v63 offset:784
	s_waitcnt lgkmcnt(0)
	v_fmac_f32_e32 v0, v1, v5
	v_fmac_f32_e32 v0, v2, v6
	;; [unrolled: 1-line block ×4, first 2 shown]
	ds_read_b128 v[5:8], v63 offset:800
	s_waitcnt lgkmcnt(0)
	v_fmac_f32_e32 v0, v25, v5
	v_fmac_f32_e32 v0, v26, v6
	;; [unrolled: 1-line block ×4, first 2 shown]
	ds_read_b128 v[5:8], v63 offset:816
	s_waitcnt lgkmcnt(0)
	v_fmac_f32_e32 v0, v57, v5
	v_fmac_f32_e32 v0, v58, v6
	;; [unrolled: 1-line block ×3, first 2 shown]
	buffer_store_dword v57, off, s[28:31], 0 offset:56 ; 4-byte Folded Spill
	s_nop 0
	buffer_store_dword v58, off, s[28:31], 0 offset:60 ; 4-byte Folded Spill
	buffer_store_dword v59, off, s[28:31], 0 offset:64 ; 4-byte Folded Spill
	;; [unrolled: 1-line block ×3, first 2 shown]
	v_fmac_f32_e32 v0, v60, v8
	ds_read_b128 v[5:8], v63 offset:832
	s_waitcnt lgkmcnt(0)
	v_fmac_f32_e32 v0, v53, v5
	v_fmac_f32_e32 v0, v54, v6
	v_fmac_f32_e32 v0, v55, v7
	v_fmac_f32_e32 v0, v56, v8
	ds_read_b128 v[5:8], v63 offset:848
	s_waitcnt lgkmcnt(0)
	v_fmac_f32_e32 v0, v49, v5
	v_fmac_f32_e32 v0, v50, v6
	v_fmac_f32_e32 v0, v51, v7
	;; [unrolled: 6-line block ×7, first 2 shown]
	v_fmac_f32_e32 v0, v32, v8
	ds_read_b128 v[5:8], v63 offset:944
	buffer_load_dword v9, off, s[28:31], 0 offset:24 ; 4-byte Folded Reload
	buffer_load_dword v10, off, s[28:31], 0 offset:28 ; 4-byte Folded Reload
	;; [unrolled: 1-line block ×4, first 2 shown]
	s_waitcnt vmcnt(3) lgkmcnt(0)
	v_fmac_f32_e32 v0, v9, v5
	s_waitcnt vmcnt(2)
	v_fmac_f32_e32 v0, v10, v6
	s_waitcnt vmcnt(1)
	;; [unrolled: 2-line block ×3, first 2 shown]
	v_fmac_f32_e32 v0, v12, v8
	ds_read_b128 v[5:8], v63 offset:960
	s_waitcnt lgkmcnt(0)
	v_fmac_f32_e32 v0, v17, v5
	v_fmac_f32_e32 v0, v18, v6
	v_fmac_f32_e32 v0, v19, v7
	buffer_store_dword v17, off, s[28:31], 0 offset:104 ; 4-byte Folded Spill
	s_nop 0
	buffer_store_dword v18, off, s[28:31], 0 offset:108 ; 4-byte Folded Spill
	buffer_store_dword v19, off, s[28:31], 0 offset:112 ; 4-byte Folded Spill
	buffer_store_dword v20, off, s[28:31], 0 offset:116 ; 4-byte Folded Spill
	v_fmac_f32_e32 v0, v20, v8
	ds_read_b128 v[5:8], v63 offset:976
	s_waitcnt lgkmcnt(0)
	v_fmac_f32_e32 v0, v13, v5
	v_fmac_f32_e32 v0, v14, v6
	v_fmac_f32_e32 v0, v15, v7
	buffer_store_dword v13, off, s[28:31], 0 offset:88 ; 4-byte Folded Spill
	s_nop 0
	buffer_store_dword v14, off, s[28:31], 0 offset:92 ; 4-byte Folded Spill
	buffer_store_dword v15, off, s[28:31], 0 offset:96 ; 4-byte Folded Spill
	buffer_store_dword v16, off, s[28:31], 0 offset:100 ; 4-byte Folded Spill
	;; [unrolled: 11-line block ×3, first 2 shown]
	v_fmac_f32_e32 v0, v24, v8
	ds_read_b128 v[5:8], v63 offset:1008
	buffer_load_dword v21, off, s[28:31], 0 offset:8 ; 4-byte Folded Reload
	buffer_load_dword v22, off, s[28:31], 0 offset:12 ; 4-byte Folded Reload
	;; [unrolled: 1-line block ×4, first 2 shown]
	s_waitcnt vmcnt(3) lgkmcnt(0)
	v_fmac_f32_e32 v0, v21, v5
	s_waitcnt vmcnt(2)
	v_fmac_f32_e32 v0, v22, v6
	s_waitcnt vmcnt(1)
	v_fmac_f32_e32 v0, v23, v7
	v_mov_b32_e32 v6, s23
	v_add_co_u32_e32 v5, vcc, s22, v61
	s_waitcnt vmcnt(0)
	v_fmac_f32_e32 v0, v24, v8
	v_addc_co_u32_e32 v6, vcc, v6, v62, vcc
	buffer_load_dword v7, off, s[28:31], 0 offset:120 ; 4-byte Folded Reload
	buffer_load_dword v8, off, s[28:31], 0 offset:124 ; 4-byte Folded Reload
	v_add_co_u32_e32 v61, vcc, s20, v61
	global_store_dword v[5:6], v0, off
	buffer_load_dword v5, off, s[28:31], 0 offset:128 ; 4-byte Folded Reload
	v_mov_b32_e32 v0, s21
	v_addc_co_u32_e32 v62, vcc, v62, v0, vcc
	v_mov_b32_e32 v9, v21
	v_mov_b32_e32 v10, v22
	;; [unrolled: 1-line block ×4, first 2 shown]
	s_waitcnt vmcnt(3)
	v_add_u32_e32 v7, s2, v7
	s_waitcnt vmcnt(0)
	v_cmp_ge_i32_e32 vcc, v7, v5
	s_or_b64 s[6:7], vcc, s[6:7]
	s_andn2_b64 exec, exec, s[6:7]
	s_cbranch_execnz .LBB2_2
; %bb.3:
	s_or_b64 exec, exec, s[6:7]
	v_mov_b32_e32 v16, v4
	v_mov_b32_e32 v15, v3
	;; [unrolled: 1-line block ×5, first 2 shown]
	buffer_load_dword v17, off, s[28:31], 0 offset:40 ; 4-byte Folded Reload
	buffer_load_dword v18, off, s[28:31], 0 offset:44 ; 4-byte Folded Reload
	;; [unrolled: 1-line block ×4, first 2 shown]
	v_mov_b32_e32 v2, v26
	v_mov_b32_e32 v3, v27
	;; [unrolled: 1-line block ×3, first 2 shown]
	buffer_load_dword v21, off, s[28:31], 0 offset:56 ; 4-byte Folded Reload
	buffer_load_dword v22, off, s[28:31], 0 offset:60 ; 4-byte Folded Reload
	;; [unrolled: 1-line block ×10, first 2 shown]
.LBB2_4:
	s_or_b64 exec, exec, s[4:5]
	s_mul_i32 s0, s2, s1
	s_waitcnt vmcnt(1)
	v_add_u32_e32 v5, s0, v6
	v_ashrrev_i32_e32 v6, 31, v5
	v_lshlrev_b64 v[5:6], 2, v[5:6]
	v_mov_b32_e32 v0, s23
	v_add_co_u32_e32 v5, vcc, s22, v5
	v_addc_co_u32_e32 v6, vcc, v0, v6, vcc
	global_store_dwordx4 v[5:6], v[17:20], off
	global_store_dwordx4 v[5:6], v[13:16], off offset:16
	global_store_dwordx4 v[5:6], v[1:4], off offset:32
	;; [unrolled: 1-line block ×11, first 2 shown]
	buffer_load_dword v0, off, s[28:31], 0 offset:104 ; 4-byte Folded Reload
	buffer_load_dword v1, off, s[28:31], 0 offset:108 ; 4-byte Folded Reload
	;; [unrolled: 1-line block ×4, first 2 shown]
	s_waitcnt vmcnt(0)
	global_store_dwordx4 v[5:6], v[0:3], off offset:192
	buffer_load_dword v0, off, s[28:31], 0 offset:88 ; 4-byte Folded Reload
	s_nop 0
	buffer_load_dword v1, off, s[28:31], 0 offset:92 ; 4-byte Folded Reload
	buffer_load_dword v2, off, s[28:31], 0 offset:96 ; 4-byte Folded Reload
	buffer_load_dword v3, off, s[28:31], 0 offset:100 ; 4-byte Folded Reload
	s_waitcnt vmcnt(0)
	global_store_dwordx4 v[5:6], v[0:3], off offset:208
	buffer_load_dword v0, off, s[28:31], 0 offset:72 ; 4-byte Folded Reload
	s_nop 0
	buffer_load_dword v1, off, s[28:31], 0 offset:76 ; 4-byte Folded Reload
	buffer_load_dword v2, off, s[28:31], 0 offset:80 ; 4-byte Folded Reload
	;; [unrolled: 1-line block ×3, first 2 shown]
	s_waitcnt vmcnt(0)
	global_store_dwordx4 v[5:6], v[0:3], off offset:224
	global_store_dwordx4 v[5:6], v[9:12], off offset:240
	s_endpgm
	.section	.rodata,"a",@progbits
	.p2align	6, 0x0
	.amdhsa_kernel _ZL13rwkv_wkv7_f32ILi64EEviiiiPKfS1_S1_S1_S1_S1_S1_Pf
		.amdhsa_group_segment_fixed_size 1280
		.amdhsa_private_segment_fixed_size 148
		.amdhsa_kernarg_size 80
		.amdhsa_user_sgpr_count 6
		.amdhsa_user_sgpr_private_segment_buffer 1
		.amdhsa_user_sgpr_dispatch_ptr 0
		.amdhsa_user_sgpr_queue_ptr 0
		.amdhsa_user_sgpr_kernarg_segment_ptr 1
		.amdhsa_user_sgpr_dispatch_id 0
		.amdhsa_user_sgpr_flat_scratch_init 0
		.amdhsa_user_sgpr_private_segment_size 0
		.amdhsa_uses_dynamic_stack 0
		.amdhsa_system_sgpr_private_segment_wavefront_offset 1
		.amdhsa_system_sgpr_workgroup_id_x 1
		.amdhsa_system_sgpr_workgroup_id_y 0
		.amdhsa_system_sgpr_workgroup_id_z 0
		.amdhsa_system_sgpr_workgroup_info 0
		.amdhsa_system_vgpr_workitem_id 0
		.amdhsa_next_free_vgpr 64
		.amdhsa_next_free_sgpr 32
		.amdhsa_reserve_vcc 1
		.amdhsa_reserve_flat_scratch 0
		.amdhsa_float_round_mode_32 0
		.amdhsa_float_round_mode_16_64 0
		.amdhsa_float_denorm_mode_32 3
		.amdhsa_float_denorm_mode_16_64 3
		.amdhsa_dx10_clamp 1
		.amdhsa_ieee_mode 1
		.amdhsa_fp16_overflow 0
		.amdhsa_exception_fp_ieee_invalid_op 0
		.amdhsa_exception_fp_denorm_src 0
		.amdhsa_exception_fp_ieee_div_zero 0
		.amdhsa_exception_fp_ieee_overflow 0
		.amdhsa_exception_fp_ieee_underflow 0
		.amdhsa_exception_fp_ieee_inexact 0
		.amdhsa_exception_int_div_zero 0
	.end_amdhsa_kernel
	.section	.text._ZL13rwkv_wkv7_f32ILi64EEviiiiPKfS1_S1_S1_S1_S1_S1_Pf,"axG",@progbits,_ZL13rwkv_wkv7_f32ILi64EEviiiiPKfS1_S1_S1_S1_S1_S1_Pf,comdat
.Lfunc_end2:
	.size	_ZL13rwkv_wkv7_f32ILi64EEviiiiPKfS1_S1_S1_S1_S1_S1_Pf, .Lfunc_end2-_ZL13rwkv_wkv7_f32ILi64EEviiiiPKfS1_S1_S1_S1_S1_S1_Pf
                                        ; -- End function
	.set _ZL13rwkv_wkv7_f32ILi64EEviiiiPKfS1_S1_S1_S1_S1_S1_Pf.num_vgpr, 64
	.set _ZL13rwkv_wkv7_f32ILi64EEviiiiPKfS1_S1_S1_S1_S1_S1_Pf.num_agpr, 0
	.set _ZL13rwkv_wkv7_f32ILi64EEviiiiPKfS1_S1_S1_S1_S1_S1_Pf.numbered_sgpr, 32
	.set _ZL13rwkv_wkv7_f32ILi64EEviiiiPKfS1_S1_S1_S1_S1_S1_Pf.num_named_barrier, 0
	.set _ZL13rwkv_wkv7_f32ILi64EEviiiiPKfS1_S1_S1_S1_S1_S1_Pf.private_seg_size, 148
	.set _ZL13rwkv_wkv7_f32ILi64EEviiiiPKfS1_S1_S1_S1_S1_S1_Pf.uses_vcc, 1
	.set _ZL13rwkv_wkv7_f32ILi64EEviiiiPKfS1_S1_S1_S1_S1_S1_Pf.uses_flat_scratch, 0
	.set _ZL13rwkv_wkv7_f32ILi64EEviiiiPKfS1_S1_S1_S1_S1_S1_Pf.has_dyn_sized_stack, 0
	.set _ZL13rwkv_wkv7_f32ILi64EEviiiiPKfS1_S1_S1_S1_S1_S1_Pf.has_recursion, 0
	.set _ZL13rwkv_wkv7_f32ILi64EEviiiiPKfS1_S1_S1_S1_S1_S1_Pf.has_indirect_call, 0
	.section	.AMDGPU.csdata,"",@progbits
; Kernel info:
; codeLenInByte = 5432
; TotalNumSgprs: 36
; NumVgprs: 64
; ScratchSize: 148
; MemoryBound: 0
; FloatMode: 240
; IeeeMode: 1
; LDSByteSize: 1280 bytes/workgroup (compile time only)
; SGPRBlocks: 4
; VGPRBlocks: 15
; NumSGPRsForWavesPerEU: 36
; NumVGPRsForWavesPerEU: 64
; Occupancy: 4
; WaveLimiterHint : 0
; COMPUTE_PGM_RSRC2:SCRATCH_EN: 1
; COMPUTE_PGM_RSRC2:USER_SGPR: 6
; COMPUTE_PGM_RSRC2:TRAP_HANDLER: 0
; COMPUTE_PGM_RSRC2:TGID_X_EN: 1
; COMPUTE_PGM_RSRC2:TGID_Y_EN: 0
; COMPUTE_PGM_RSRC2:TGID_Z_EN: 0
; COMPUTE_PGM_RSRC2:TIDIG_COMP_CNT: 0
	.section	.text._ZL13rwkv_wkv7_f32ILi128EEviiiiPKfS1_S1_S1_S1_S1_S1_Pf,"axG",@progbits,_ZL13rwkv_wkv7_f32ILi128EEviiiiPKfS1_S1_S1_S1_S1_S1_Pf,comdat
	.globl	_ZL13rwkv_wkv7_f32ILi128EEviiiiPKfS1_S1_S1_S1_S1_S1_Pf ; -- Begin function _ZL13rwkv_wkv7_f32ILi128EEviiiiPKfS1_S1_S1_S1_S1_S1_Pf
	.p2align	8
	.type	_ZL13rwkv_wkv7_f32ILi128EEviiiiPKfS1_S1_S1_S1_S1_S1_Pf,@function
_ZL13rwkv_wkv7_f32ILi128EEviiiiPKfS1_S1_S1_S1_S1_S1_Pf: ; @_ZL13rwkv_wkv7_f32ILi128EEviiiiPKfS1_S1_S1_S1_S1_S1_Pf
; %bb.0:
	s_mov_b64 s[30:31], s[2:3]
	s_mov_b64 s[28:29], s[0:1]
	s_load_dwordx4 s[0:3], s[4:5], 0x0
	s_load_dwordx16 s[8:23], s[4:5], 0x10
	s_add_u32 s28, s28, s7
	s_addc_u32 s29, s29, 0
	s_abs_i32 s5, s6
	s_waitcnt lgkmcnt(0)
	s_abs_i32 s7, s3
	v_cvt_f32_u32_e32 v1, s7
	s_sub_i32 s24, 0, s7
	s_xor_b32 s4, s6, s3
	s_ashr_i32 s4, s4, 31
	v_rcp_iflag_f32_e32 v1, v1
	v_mul_f32_e32 v1, 0x4f7ffffe, v1
	v_cvt_u32_f32_e32 v1, v1
	v_readfirstlane_b32 s25, v1
	s_mul_i32 s24, s24, s25
	s_mul_hi_u32 s24, s25, s24
	s_add_i32 s25, s25, s24
	s_mul_hi_u32 s24, s5, s25
	s_mul_i32 s25, s24, s7
	s_sub_i32 s5, s5, s25
	s_add_i32 s25, s24, 1
	s_sub_i32 s26, s5, s7
	s_cmp_ge_u32 s5, s7
	s_cselect_b32 s24, s25, s24
	s_cselect_b32 s5, s26, s5
	s_add_i32 s25, s24, 1
	s_cmp_ge_u32 s5, s7
	s_cselect_b32 s5, s25, s24
	s_xor_b32 s5, s5, s4
	s_sub_i32 s4, s5, s4
	s_mul_i32 s3, s4, s3
	s_sub_i32 s3, s6, s3
	s_mul_i32 s5, s2, s4
	s_lshl_b32 s5, s5, 7
	s_lshl_b32 s6, s3, 14
	s_add_i32 s6, s6, s5
	v_lshl_add_u32 v11, v0, 7, s6
	v_ashrrev_i32_e32 v12, 31, v11
	v_lshlrev_b64 v[1:2], 2, v[11:12]
	s_xor_b32 s5, s1, s0
	v_add_co_u32_e32 v9, vcc, s20, v1
	v_mov_b32_e32 v1, s21
	v_addc_co_u32_e32 v10, vcc, v1, v2, vcc
	global_load_dwordx4 v[1:4], v[9:10], off
	s_abs_i32 s0, s0
	s_sub_i32 s7, 0, s0
	s_abs_i32 s6, s1
	s_ashr_i32 s5, s5, 31
	s_waitcnt vmcnt(0)
	buffer_store_dword v1, off, s[28:31], 0 offset:56 ; 4-byte Folded Spill
	s_nop 0
	buffer_store_dword v2, off, s[28:31], 0 offset:60 ; 4-byte Folded Spill
	buffer_store_dword v3, off, s[28:31], 0 offset:64 ; 4-byte Folded Spill
	buffer_store_dword v4, off, s[28:31], 0 offset:68 ; 4-byte Folded Spill
	global_load_dwordx4 v[1:4], v[9:10], off offset:16
	s_waitcnt vmcnt(0)
	buffer_store_dword v1, off, s[28:31], 0 offset:296 ; 4-byte Folded Spill
	s_nop 0
	buffer_store_dword v2, off, s[28:31], 0 offset:300 ; 4-byte Folded Spill
	buffer_store_dword v3, off, s[28:31], 0 offset:304 ; 4-byte Folded Spill
	buffer_store_dword v4, off, s[28:31], 0 offset:308 ; 4-byte Folded Spill
	global_load_dwordx4 v[1:4], v[9:10], off offset:32
	;; [unrolled: 7-line block ×14, first 2 shown]
	global_load_dwordx4 v[26:29], v[9:10], off offset:240
	global_load_dwordx4 v[22:25], v[9:10], off offset:256
	s_nop 0
	global_load_dwordx4 v[1:4], v[9:10], off offset:272
	s_waitcnt vmcnt(0)
	buffer_store_dword v1, off, s[28:31], 0 offset:24 ; 4-byte Folded Spill
	s_nop 0
	buffer_store_dword v2, off, s[28:31], 0 offset:28 ; 4-byte Folded Spill
	buffer_store_dword v3, off, s[28:31], 0 offset:32 ; 4-byte Folded Spill
	;; [unrolled: 1-line block ×3, first 2 shown]
	global_load_dwordx4 v[5:8], v[9:10], off offset:288
	s_nop 0
	global_load_dwordx4 v[1:4], v[9:10], off offset:304
	global_load_dwordx4 v[58:61], v[9:10], off offset:320
	;; [unrolled: 1-line block ×8, first 2 shown]
	s_waitcnt vmcnt(0)
	buffer_store_dword v12, off, s[28:31], 0 offset:392 ; 4-byte Folded Spill
	s_nop 0
	buffer_store_dword v13, off, s[28:31], 0 offset:396 ; 4-byte Folded Spill
	buffer_store_dword v14, off, s[28:31], 0 offset:400 ; 4-byte Folded Spill
	buffer_store_dword v15, off, s[28:31], 0 offset:404 ; 4-byte Folded Spill
	global_load_dwordx4 v[12:15], v[9:10], off offset:432
	s_waitcnt vmcnt(0)
	buffer_store_dword v12, off, s[28:31], 0 offset:376 ; 4-byte Folded Spill
	s_nop 0
	buffer_store_dword v13, off, s[28:31], 0 offset:380 ; 4-byte Folded Spill
	buffer_store_dword v14, off, s[28:31], 0 offset:384 ; 4-byte Folded Spill
	buffer_store_dword v15, off, s[28:31], 0 offset:388 ; 4-byte Folded Spill
	global_load_dwordx4 v[12:15], v[9:10], off offset:448
	;; [unrolled: 7-line block ×5, first 2 shown]
	v_cvt_f32_u32_e32 v9, s0
	v_rcp_iflag_f32_e32 v9, v9
	v_mul_f32_e32 v9, 0x4f7ffffe, v9
	v_cvt_u32_f32_e32 v9, v9
	v_readfirstlane_b32 s20, v9
	s_mul_i32 s7, s7, s20
	s_mul_hi_u32 s7, s20, s7
	s_add_i32 s20, s20, s7
	s_mul_hi_u32 s7, s6, s20
	s_mul_i32 s20, s7, s0
	s_sub_i32 s6, s6, s20
	s_add_i32 s20, s7, 1
	s_sub_i32 s21, s6, s0
	s_cmp_ge_u32 s6, s0
	s_cselect_b32 s7, s20, s7
	s_cselect_b32 s6, s21, s6
	s_add_i32 s20, s7, 1
	s_cmp_ge_u32 s6, s0
	s_cselect_b32 s0, s20, s7
	s_xor_b32 s0, s0, s5
	s_sub_i32 s0, s0, s5
	s_mul_i32 s0, s0, s2
	s_mul_i32 s5, s0, s4
	s_add_i32 s4, s4, 1
	v_lshl_add_u32 v9, s3, 7, v0
	s_mul_i32 s0, s0, s4
	v_add_u32_e32 v17, s5, v9
	v_add_u32_e32 v9, s0, v9
	v_cmp_lt_i32_e32 vcc, v17, v9
	s_and_saveexec_b64 s[4:5], vcc
	s_cbranch_execz .LBB3_4
; %bb.1:
	buffer_store_dword v11, off, s[28:31], 0 offset:536 ; 4-byte Folded Spill
	s_nop 0
	buffer_store_dword v12, off, s[28:31], 0 offset:540 ; 4-byte Folded Spill
	v_ashrrev_i32_e32 v18, 31, v17
	v_lshlrev_b64 v[10:11], 2, v[17:18]
	s_ashr_i32 s3, s2, 31
	v_lshlrev_b32_e32 v0, 2, v0
	s_lshl_b64 s[20:21], s[2:3], 2
	s_mov_b64 s[6:7], 0
	buffer_store_dword v0, off, s[28:31], 0 offset:528 ; 4-byte Folded Spill
	buffer_store_dword v38, off, s[28:31], 0 offset:488 ; 4-byte Folded Spill
	s_nop 0
	buffer_store_dword v39, off, s[28:31], 0 offset:492 ; 4-byte Folded Spill
	buffer_store_dword v40, off, s[28:31], 0 offset:496 ; 4-byte Folded Spill
	buffer_store_dword v41, off, s[28:31], 0 offset:500 ; 4-byte Folded Spill
	buffer_store_dword v42, off, s[28:31], 0 offset:472 ; 4-byte Folded Spill
	s_nop 0
	buffer_store_dword v43, off, s[28:31], 0 offset:476 ; 4-byte Folded Spill
	buffer_store_dword v44, off, s[28:31], 0 offset:480 ; 4-byte Folded Spill
	;; [unrolled: 5-line block ×11, first 2 shown]
	buffer_store_dword v33, off, s[28:31], 0 offset:100 ; 4-byte Folded Spill
	buffer_store_dword v9, off, s[28:31], 0 offset:532 ; 4-byte Folded Spill
.LBB3_2:                                ; =>This Inner Loop Header: Depth=1
	buffer_store_dword v10, off, s[28:31], 0 offset:16 ; 4-byte Folded Spill
	s_nop 0
	buffer_store_dword v11, off, s[28:31], 0 offset:20 ; 4-byte Folded Spill
	buffer_store_dword v17, off, s[28:31], 0 offset:520 ; 4-byte Folded Spill
	s_nop 0
	buffer_store_dword v18, off, s[28:31], 0 offset:524 ; 4-byte Folded Spill
	s_waitcnt vmcnt(52)
	buffer_store_dword v13, off, s[28:31], 0 ; 4-byte Folded Spill
	s_nop 0
	buffer_store_dword v14, off, s[28:31], 0 offset:4 ; 4-byte Folded Spill
	buffer_store_dword v15, off, s[28:31], 0 offset:8 ; 4-byte Folded Spill
	;; [unrolled: 1-line block ×3, first 2 shown]
	buffer_load_dword v1, off, s[28:31], 0 offset:16 ; 4-byte Folded Reload
	buffer_load_dword v2, off, s[28:31], 0 offset:20 ; 4-byte Folded Reload
	v_mov_b32_e32 v0, s9
	v_mov_b32_e32 v30, 0
	s_waitcnt vmcnt(1)
	v_add_co_u32_e32 v9, vcc, s8, v1
	buffer_load_dword v1, off, s[28:31], 0 offset:16 ; 4-byte Folded Reload
	buffer_load_dword v2, off, s[28:31], 0 offset:20 ; 4-byte Folded Reload
	s_waitcnt vmcnt(0)
	v_addc_co_u32_e32 v10, vcc, v0, v2, vcc
	buffer_load_dword v1, off, s[28:31], 0 offset:16 ; 4-byte Folded Reload
	buffer_load_dword v2, off, s[28:31], 0 offset:20 ; 4-byte Folded Reload
	v_mov_b32_e32 v0, s11
	s_waitcnt vmcnt(1)
	v_add_co_u32_e32 v11, vcc, s10, v1
	buffer_load_dword v1, off, s[28:31], 0 offset:16 ; 4-byte Folded Reload
	buffer_load_dword v2, off, s[28:31], 0 offset:20 ; 4-byte Folded Reload
	s_waitcnt vmcnt(0)
	v_addc_co_u32_e32 v12, vcc, v0, v2, vcc
	buffer_load_dword v1, off, s[28:31], 0 offset:16 ; 4-byte Folded Reload
	buffer_load_dword v2, off, s[28:31], 0 offset:20 ; 4-byte Folded Reload
	;; [unrolled: 9-line block ×4, first 2 shown]
	v_mov_b32_e32 v0, s19
	s_waitcnt vmcnt(1)
	v_add_co_u32_e32 v61, vcc, s18, v1
	buffer_load_dword v1, off, s[28:31], 0 offset:16 ; 4-byte Folded Reload
	buffer_load_dword v2, off, s[28:31], 0 offset:20 ; 4-byte Folded Reload
	s_waitcnt vmcnt(0)
	s_barrier
	v_addc_co_u32_e32 v62, vcc, v0, v2, vcc
	global_load_dword v0, v[9:10], off
	s_nop 0
	global_load_dword v9, v[11:12], off
	global_load_dword v10, v[13:14], off
	s_nop 0
	global_load_dword v11, v[15:16], off
	global_load_dword v12, v[61:62], off
	buffer_load_dword v14, off, s[28:31], 0 offset:528 ; 4-byte Folded Reload
	s_waitcnt vmcnt(0)
	v_add_u32_e32 v13, 0x600, v14
	ds_write_b32 v13, v0
	v_add_u32_e32 v0, 0x800, v14
	ds_write_b32 v0, v9
	;; [unrolled: 2-line block ×3, first 2 shown]
	ds_write_b32 v14, v11
	v_add_u32_e32 v0, 0x200, v14
	ds_write_b32 v0, v12
	s_waitcnt lgkmcnt(0)
	s_barrier
	ds_read_b128 v[9:12], v30
	buffer_load_dword v0, off, s[28:31], 0 offset:56 ; 4-byte Folded Reload
	buffer_load_dword v1, off, s[28:31], 0 offset:60 ; 4-byte Folded Reload
	buffer_load_dword v2, off, s[28:31], 0 offset:64 ; 4-byte Folded Reload
	buffer_load_dword v3, off, s[28:31], 0 offset:68 ; 4-byte Folded Reload
	s_waitcnt vmcnt(3) lgkmcnt(0)
	v_fma_f32 v35, v9, v0, 0
	s_waitcnt vmcnt(2)
	v_fmac_f32_e32 v35, v10, v1
	s_waitcnt vmcnt(1)
	v_fmac_f32_e32 v35, v11, v2
	;; [unrolled: 2-line block ×3, first 2 shown]
	ds_read_b128 v[9:12], v30 offset:2048
	s_waitcnt lgkmcnt(0)
	v_mul_f32_e32 v0, v0, v9
	v_mul_f32_e32 v1, v1, v10
	;; [unrolled: 1-line block ×4, first 2 shown]
	buffer_store_dword v0, off, s[28:31], 0 offset:56 ; 4-byte Folded Spill
	s_nop 0
	buffer_store_dword v1, off, s[28:31], 0 offset:60 ; 4-byte Folded Spill
	buffer_store_dword v2, off, s[28:31], 0 offset:64 ; 4-byte Folded Spill
	;; [unrolled: 1-line block ×3, first 2 shown]
	ds_read_b128 v[9:12], v30 offset:16
	buffer_load_dword v5, off, s[28:31], 0 offset:296 ; 4-byte Folded Reload
	buffer_load_dword v6, off, s[28:31], 0 offset:300 ; 4-byte Folded Reload
	;; [unrolled: 1-line block ×4, first 2 shown]
	s_waitcnt vmcnt(3) lgkmcnt(0)
	v_fmac_f32_e32 v35, v9, v5
	s_waitcnt vmcnt(2)
	v_fmac_f32_e32 v35, v10, v6
	s_waitcnt vmcnt(1)
	;; [unrolled: 2-line block ×3, first 2 shown]
	v_fmac_f32_e32 v35, v12, v8
	ds_read_b128 v[9:12], v30 offset:2064
	s_waitcnt lgkmcnt(0)
	v_mul_f32_e32 v5, v5, v9
	v_mul_f32_e32 v6, v6, v10
	;; [unrolled: 1-line block ×4, first 2 shown]
	ds_read_b128 v[9:12], v30 offset:32
	buffer_load_dword v13, off, s[28:31], 0 offset:280 ; 4-byte Folded Reload
	buffer_load_dword v14, off, s[28:31], 0 offset:284 ; 4-byte Folded Reload
	;; [unrolled: 1-line block ×4, first 2 shown]
	s_waitcnt vmcnt(3) lgkmcnt(0)
	v_fmac_f32_e32 v35, v9, v13
	s_waitcnt vmcnt(2)
	v_fmac_f32_e32 v35, v10, v14
	s_waitcnt vmcnt(1)
	;; [unrolled: 2-line block ×3, first 2 shown]
	v_fmac_f32_e32 v35, v12, v16
	ds_read_b128 v[9:12], v30 offset:2080
	s_waitcnt lgkmcnt(0)
	v_mul_f32_e32 v13, v13, v9
	v_mul_f32_e32 v14, v14, v10
	;; [unrolled: 1-line block ×4, first 2 shown]
	ds_read_b128 v[9:12], v30 offset:48
	buffer_load_dword v18, off, s[28:31], 0 offset:264 ; 4-byte Folded Reload
	buffer_load_dword v19, off, s[28:31], 0 offset:268 ; 4-byte Folded Reload
	;; [unrolled: 1-line block ×4, first 2 shown]
	v_mov_b32_e32 v17, v16
	v_mov_b32_e32 v16, v15
	;; [unrolled: 1-line block ×4, first 2 shown]
	s_waitcnt vmcnt(3) lgkmcnt(0)
	v_fmac_f32_e32 v35, v9, v18
	s_waitcnt vmcnt(2)
	v_fmac_f32_e32 v35, v10, v19
	s_waitcnt vmcnt(1)
	v_fmac_f32_e32 v35, v11, v20
	s_waitcnt vmcnt(0)
	v_fmac_f32_e32 v35, v12, v21
	ds_read_b128 v[9:12], v30 offset:2096
	s_waitcnt lgkmcnt(0)
	v_mul_f32_e32 v18, v18, v9
	v_mul_f32_e32 v19, v19, v10
	v_mul_f32_e32 v20, v20, v11
	v_mul_f32_e32 v21, v21, v12
	ds_read_b128 v[9:12], v30 offset:64
	buffer_load_dword v36, off, s[28:31], 0 offset:248 ; 4-byte Folded Reload
	buffer_load_dword v37, off, s[28:31], 0 offset:252 ; 4-byte Folded Reload
	buffer_load_dword v38, off, s[28:31], 0 offset:256 ; 4-byte Folded Reload
	buffer_load_dword v39, off, s[28:31], 0 offset:260 ; 4-byte Folded Reload
	s_waitcnt vmcnt(3) lgkmcnt(0)
	v_fmac_f32_e32 v35, v9, v36
	s_waitcnt vmcnt(2)
	v_fmac_f32_e32 v35, v10, v37
	s_waitcnt vmcnt(1)
	v_fmac_f32_e32 v35, v11, v38
	s_waitcnt vmcnt(0)
	v_fmac_f32_e32 v35, v12, v39
	ds_read_b128 v[9:12], v30 offset:2112
	s_waitcnt lgkmcnt(0)
	v_mul_f32_e32 v36, v36, v9
	v_mul_f32_e32 v37, v37, v10
	v_mul_f32_e32 v38, v38, v11
	v_mul_f32_e32 v39, v39, v12
	ds_read_b128 v[9:12], v30 offset:80
	buffer_load_dword v40, off, s[28:31], 0 offset:232 ; 4-byte Folded Reload
	buffer_load_dword v41, off, s[28:31], 0 offset:236 ; 4-byte Folded Reload
	buffer_load_dword v42, off, s[28:31], 0 offset:240 ; 4-byte Folded Reload
	buffer_load_dword v43, off, s[28:31], 0 offset:244 ; 4-byte Folded Reload
	;; [unrolled: 19-line block ×9, first 2 shown]
	s_waitcnt vmcnt(3) lgkmcnt(0)
	v_fmac_f32_e32 v35, v9, v0
	s_waitcnt vmcnt(2)
	v_fmac_f32_e32 v35, v10, v1
	s_waitcnt vmcnt(1)
	v_fmac_f32_e32 v35, v11, v2
	s_waitcnt vmcnt(0)
	v_fmac_f32_e32 v35, v12, v3
	ds_read_b128 v[9:12], v30 offset:2240
	s_waitcnt lgkmcnt(0)
	v_mul_f32_e32 v0, v0, v9
	v_mul_f32_e32 v1, v1, v10
	;; [unrolled: 1-line block ×4, first 2 shown]
	buffer_store_dword v0, off, s[28:31], 0 offset:40 ; 4-byte Folded Spill
	s_nop 0
	buffer_store_dword v1, off, s[28:31], 0 offset:44 ; 4-byte Folded Spill
	buffer_store_dword v2, off, s[28:31], 0 offset:48 ; 4-byte Folded Spill
	;; [unrolled: 1-line block ×3, first 2 shown]
	ds_read_b128 v[9:12], v30 offset:208
	buffer_load_dword v31, off, s[28:31], 0 offset:120 ; 4-byte Folded Reload
	buffer_load_dword v32, off, s[28:31], 0 offset:124 ; 4-byte Folded Reload
	;; [unrolled: 1-line block ×4, first 2 shown]
	s_waitcnt vmcnt(3) lgkmcnt(0)
	v_fmac_f32_e32 v35, v9, v31
	s_waitcnt vmcnt(2)
	v_fmac_f32_e32 v35, v10, v32
	s_waitcnt vmcnt(1)
	v_fmac_f32_e32 v35, v11, v33
	s_waitcnt vmcnt(0)
	v_fmac_f32_e32 v35, v12, v34
	ds_read_b128 v[9:12], v30 offset:2256
	s_waitcnt lgkmcnt(0)
	v_mul_f32_e32 v31, v31, v9
	v_mul_f32_e32 v32, v32, v10
	v_mul_f32_e32 v33, v33, v11
	v_mul_f32_e32 v34, v34, v12
	ds_read_b128 v[9:12], v30 offset:224
	buffer_load_dword v0, off, s[28:31], 0 offset:88 ; 4-byte Folded Reload
	buffer_load_dword v1, off, s[28:31], 0 offset:92 ; 4-byte Folded Reload
	;; [unrolled: 1-line block ×4, first 2 shown]
	s_waitcnt vmcnt(3) lgkmcnt(0)
	v_fmac_f32_e32 v35, v9, v0
	s_waitcnt vmcnt(2)
	v_fmac_f32_e32 v35, v10, v1
	s_waitcnt vmcnt(1)
	v_fmac_f32_e32 v35, v11, v2
	s_waitcnt vmcnt(0)
	v_fmac_f32_e32 v35, v12, v3
	ds_read_b128 v[9:12], v30 offset:2272
	s_waitcnt lgkmcnt(0)
	v_mul_f32_e32 v0, v0, v9
	v_mul_f32_e32 v1, v1, v10
	;; [unrolled: 1-line block ×4, first 2 shown]
	buffer_store_dword v0, off, s[28:31], 0 offset:88 ; 4-byte Folded Spill
	s_nop 0
	buffer_store_dword v1, off, s[28:31], 0 offset:92 ; 4-byte Folded Spill
	buffer_store_dword v2, off, s[28:31], 0 offset:96 ; 4-byte Folded Spill
	;; [unrolled: 1-line block ×3, first 2 shown]
	ds_read_b128 v[9:12], v30 offset:240
	buffer_load_dword v26, off, s[28:31], 0 offset:312 ; 4-byte Folded Reload
	buffer_load_dword v27, off, s[28:31], 0 offset:316 ; 4-byte Folded Reload
	;; [unrolled: 1-line block ×4, first 2 shown]
	s_waitcnt vmcnt(3) lgkmcnt(0)
	v_fmac_f32_e32 v35, v9, v26
	s_waitcnt vmcnt(2)
	v_fmac_f32_e32 v35, v10, v27
	s_waitcnt vmcnt(1)
	;; [unrolled: 2-line block ×3, first 2 shown]
	v_fmac_f32_e32 v35, v12, v29
	ds_read_b128 v[9:12], v30 offset:2288
	s_waitcnt lgkmcnt(0)
	v_mul_f32_e32 v26, v26, v9
	v_mul_f32_e32 v27, v27, v10
	;; [unrolled: 1-line block ×4, first 2 shown]
	ds_read_b128 v[9:12], v30 offset:256
	buffer_load_dword v0, off, s[28:31], 0 offset:72 ; 4-byte Folded Reload
	buffer_load_dword v1, off, s[28:31], 0 offset:76 ; 4-byte Folded Reload
	;; [unrolled: 1-line block ×4, first 2 shown]
	s_waitcnt vmcnt(3) lgkmcnt(0)
	v_fmac_f32_e32 v35, v9, v0
	s_waitcnt vmcnt(2)
	v_fmac_f32_e32 v35, v10, v1
	s_waitcnt vmcnt(1)
	;; [unrolled: 2-line block ×3, first 2 shown]
	v_fmac_f32_e32 v35, v12, v3
	ds_read_b128 v[9:12], v30 offset:2304
	s_waitcnt lgkmcnt(0)
	v_mul_f32_e32 v0, v0, v9
	v_mul_f32_e32 v1, v1, v10
	;; [unrolled: 1-line block ×4, first 2 shown]
	buffer_store_dword v0, off, s[28:31], 0 offset:72 ; 4-byte Folded Spill
	s_nop 0
	buffer_store_dword v1, off, s[28:31], 0 offset:76 ; 4-byte Folded Spill
	buffer_store_dword v2, off, s[28:31], 0 offset:80 ; 4-byte Folded Spill
	buffer_store_dword v3, off, s[28:31], 0 offset:84 ; 4-byte Folded Spill
	ds_read_b128 v[9:12], v30 offset:272
	buffer_load_dword v0, off, s[28:31], 0 offset:24 ; 4-byte Folded Reload
	buffer_load_dword v1, off, s[28:31], 0 offset:28 ; 4-byte Folded Reload
	;; [unrolled: 1-line block ×4, first 2 shown]
	s_waitcnt vmcnt(3) lgkmcnt(0)
	v_fmac_f32_e32 v35, v9, v0
	s_waitcnt vmcnt(2)
	v_fmac_f32_e32 v35, v10, v1
	s_waitcnt vmcnt(1)
	;; [unrolled: 2-line block ×3, first 2 shown]
	v_fmac_f32_e32 v35, v12, v3
	ds_read_b128 v[9:12], v30 offset:2320
	s_waitcnt lgkmcnt(0)
	v_mul_f32_e32 v0, v0, v9
	v_mul_f32_e32 v1, v1, v10
	;; [unrolled: 1-line block ×4, first 2 shown]
	buffer_store_dword v0, off, s[28:31], 0 offset:24 ; 4-byte Folded Spill
	s_nop 0
	buffer_store_dword v1, off, s[28:31], 0 offset:28 ; 4-byte Folded Spill
	buffer_store_dword v2, off, s[28:31], 0 offset:32 ; 4-byte Folded Spill
	;; [unrolled: 1-line block ×3, first 2 shown]
	ds_read_b128 v[9:12], v30 offset:288
	buffer_load_dword v0, off, s[28:31], 0 offset:104 ; 4-byte Folded Reload
	buffer_load_dword v1, off, s[28:31], 0 offset:108 ; 4-byte Folded Reload
	;; [unrolled: 1-line block ×4, first 2 shown]
	s_waitcnt vmcnt(3) lgkmcnt(0)
	v_fmac_f32_e32 v35, v9, v0
	s_waitcnt vmcnt(2)
	v_fmac_f32_e32 v35, v10, v1
	s_waitcnt vmcnt(1)
	v_fmac_f32_e32 v35, v11, v2
	s_waitcnt vmcnt(0)
	v_fmac_f32_e32 v35, v12, v3
	buffer_load_dword v11, off, s[28:31], 0 offset:16 ; 4-byte Folded Reload
	buffer_load_dword v12, off, s[28:31], 0 offset:20 ; 4-byte Folded Reload
	v_mov_b32_e32 v10, s15
	s_waitcnt vmcnt(1)
	v_add_co_u32_e32 v9, vcc, s14, v11
	buffer_load_dword v11, off, s[28:31], 0 offset:16 ; 4-byte Folded Reload
	buffer_load_dword v12, off, s[28:31], 0 offset:20 ; 4-byte Folded Reload
	s_waitcnt vmcnt(0)
	v_addc_co_u32_e32 v10, vcc, v10, v12, vcc
	global_load_dword v9, v[9:10], off
	ds_read_b128 v[10:13], v30 offset:1024
	buffer_load_dword v0, off, s[28:31], 0 offset:56 ; 4-byte Folded Reload
	buffer_load_dword v1, off, s[28:31], 0 offset:60 ; 4-byte Folded Reload
	;; [unrolled: 1-line block ×4, first 2 shown]
	s_waitcnt vmcnt(3) lgkmcnt(0)
	v_fmac_f32_e32 v0, v9, v10
	s_waitcnt vmcnt(2)
	v_fmac_f32_e32 v1, v9, v11
	s_waitcnt vmcnt(1)
	;; [unrolled: 2-line block ×3, first 2 shown]
	v_fmac_f32_e32 v3, v9, v13
	buffer_store_dword v0, off, s[28:31], 0 offset:56 ; 4-byte Folded Spill
	s_nop 0
	buffer_store_dword v1, off, s[28:31], 0 offset:60 ; 4-byte Folded Spill
	buffer_store_dword v2, off, s[28:31], 0 offset:64 ; 4-byte Folded Spill
	buffer_store_dword v3, off, s[28:31], 0 offset:68 ; 4-byte Folded Spill
	ds_read_b128 v[10:13], v30 offset:1040
	s_waitcnt lgkmcnt(0)
	v_fmac_f32_e32 v5, v9, v10
	v_fmac_f32_e32 v6, v9, v11
	v_fmac_f32_e32 v7, v9, v12
	v_fmac_f32_e32 v8, v9, v13
	buffer_store_dword v5, off, s[28:31], 0 offset:296 ; 4-byte Folded Spill
	s_nop 0
	buffer_store_dword v6, off, s[28:31], 0 offset:300 ; 4-byte Folded Spill
	buffer_store_dword v7, off, s[28:31], 0 offset:304 ; 4-byte Folded Spill
	buffer_store_dword v8, off, s[28:31], 0 offset:308 ; 4-byte Folded Spill
	ds_read_b128 v[10:13], v30 offset:1056
	s_waitcnt lgkmcnt(0)
	v_fmac_f32_e32 v14, v9, v10
	v_fmac_f32_e32 v15, v9, v11
	v_fmac_f32_e32 v16, v9, v12
	;; [unrolled: 11-line block ×11, first 2 shown]
	v_fmac_f32_e32 v25, v9, v13
	buffer_store_dword v22, off, s[28:31], 0 offset:136 ; 4-byte Folded Spill
	s_nop 0
	buffer_store_dword v23, off, s[28:31], 0 offset:140 ; 4-byte Folded Spill
	buffer_store_dword v24, off, s[28:31], 0 offset:144 ; 4-byte Folded Spill
	;; [unrolled: 1-line block ×3, first 2 shown]
	ds_read_b128 v[10:13], v30 offset:1216
	buffer_load_dword v0, off, s[28:31], 0 offset:40 ; 4-byte Folded Reload
	buffer_load_dword v1, off, s[28:31], 0 offset:44 ; 4-byte Folded Reload
	;; [unrolled: 1-line block ×4, first 2 shown]
	s_waitcnt vmcnt(3) lgkmcnt(0)
	v_fmac_f32_e32 v0, v9, v10
	s_waitcnt vmcnt(2)
	v_fmac_f32_e32 v1, v9, v11
	s_waitcnt vmcnt(1)
	;; [unrolled: 2-line block ×3, first 2 shown]
	v_fmac_f32_e32 v3, v9, v13
	buffer_store_dword v0, off, s[28:31], 0 offset:40 ; 4-byte Folded Spill
	s_nop 0
	buffer_store_dword v1, off, s[28:31], 0 offset:44 ; 4-byte Folded Spill
	buffer_store_dword v2, off, s[28:31], 0 offset:48 ; 4-byte Folded Spill
	;; [unrolled: 1-line block ×3, first 2 shown]
	ds_read_b128 v[10:13], v30 offset:1232
	s_waitcnt lgkmcnt(0)
	v_fmac_f32_e32 v31, v9, v10
	v_fmac_f32_e32 v32, v9, v11
	;; [unrolled: 1-line block ×4, first 2 shown]
	buffer_store_dword v31, off, s[28:31], 0 offset:120 ; 4-byte Folded Spill
	s_nop 0
	buffer_store_dword v32, off, s[28:31], 0 offset:124 ; 4-byte Folded Spill
	buffer_store_dword v33, off, s[28:31], 0 offset:128 ; 4-byte Folded Spill
	;; [unrolled: 1-line block ×3, first 2 shown]
	ds_read_b128 v[10:13], v30 offset:1248
	buffer_load_dword v0, off, s[28:31], 0 offset:88 ; 4-byte Folded Reload
	buffer_load_dword v1, off, s[28:31], 0 offset:92 ; 4-byte Folded Reload
	;; [unrolled: 1-line block ×4, first 2 shown]
	s_waitcnt vmcnt(3) lgkmcnt(0)
	v_fmac_f32_e32 v0, v9, v10
	s_waitcnt vmcnt(2)
	v_fmac_f32_e32 v1, v9, v11
	s_waitcnt vmcnt(1)
	;; [unrolled: 2-line block ×3, first 2 shown]
	v_fmac_f32_e32 v3, v9, v13
	buffer_store_dword v0, off, s[28:31], 0 offset:88 ; 4-byte Folded Spill
	s_nop 0
	buffer_store_dword v1, off, s[28:31], 0 offset:92 ; 4-byte Folded Spill
	buffer_store_dword v2, off, s[28:31], 0 offset:96 ; 4-byte Folded Spill
	;; [unrolled: 1-line block ×3, first 2 shown]
	ds_read_b128 v[10:13], v30 offset:1264
	s_waitcnt lgkmcnt(0)
	v_fmac_f32_e32 v26, v9, v10
	v_fmac_f32_e32 v27, v9, v11
	;; [unrolled: 1-line block ×4, first 2 shown]
	buffer_store_dword v26, off, s[28:31], 0 offset:312 ; 4-byte Folded Spill
	s_nop 0
	buffer_store_dword v27, off, s[28:31], 0 offset:316 ; 4-byte Folded Spill
	buffer_store_dword v28, off, s[28:31], 0 offset:320 ; 4-byte Folded Spill
	buffer_store_dword v29, off, s[28:31], 0 offset:324 ; 4-byte Folded Spill
	ds_read_b128 v[10:13], v30 offset:1280
	buffer_load_dword v0, off, s[28:31], 0 offset:72 ; 4-byte Folded Reload
	buffer_load_dword v1, off, s[28:31], 0 offset:76 ; 4-byte Folded Reload
	;; [unrolled: 1-line block ×4, first 2 shown]
	s_waitcnt vmcnt(3) lgkmcnt(0)
	v_fmac_f32_e32 v0, v9, v10
	s_waitcnt vmcnt(2)
	v_fmac_f32_e32 v1, v9, v11
	s_waitcnt vmcnt(1)
	;; [unrolled: 2-line block ×3, first 2 shown]
	v_fmac_f32_e32 v3, v9, v13
	buffer_store_dword v0, off, s[28:31], 0 offset:72 ; 4-byte Folded Spill
	s_nop 0
	buffer_store_dword v1, off, s[28:31], 0 offset:76 ; 4-byte Folded Spill
	buffer_store_dword v2, off, s[28:31], 0 offset:80 ; 4-byte Folded Spill
	;; [unrolled: 1-line block ×3, first 2 shown]
	ds_read_b128 v[10:13], v30 offset:1296
	buffer_load_dword v0, off, s[28:31], 0 offset:24 ; 4-byte Folded Reload
	buffer_load_dword v1, off, s[28:31], 0 offset:28 ; 4-byte Folded Reload
	;; [unrolled: 1-line block ×4, first 2 shown]
	s_waitcnt vmcnt(3) lgkmcnt(0)
	v_fmac_f32_e32 v0, v9, v10
	s_waitcnt vmcnt(2)
	v_fmac_f32_e32 v1, v9, v11
	s_waitcnt vmcnt(1)
	;; [unrolled: 2-line block ×3, first 2 shown]
	v_fmac_f32_e32 v3, v9, v13
	buffer_store_dword v0, off, s[28:31], 0 offset:24 ; 4-byte Folded Spill
	s_nop 0
	buffer_store_dword v1, off, s[28:31], 0 offset:28 ; 4-byte Folded Spill
	buffer_store_dword v2, off, s[28:31], 0 offset:32 ; 4-byte Folded Spill
	;; [unrolled: 1-line block ×3, first 2 shown]
	ds_read_b128 v[10:13], v30 offset:2336
	buffer_load_dword v0, off, s[28:31], 0 offset:104 ; 4-byte Folded Reload
	buffer_load_dword v1, off, s[28:31], 0 offset:108 ; 4-byte Folded Reload
	;; [unrolled: 1-line block ×4, first 2 shown]
	s_waitcnt vmcnt(3) lgkmcnt(0)
	v_mul_f32_e32 v0, v0, v10
	s_waitcnt vmcnt(2)
	v_mul_f32_e32 v1, v1, v11
	s_waitcnt vmcnt(1)
	;; [unrolled: 2-line block ×3, first 2 shown]
	v_mul_f32_e32 v3, v3, v13
	ds_read_b128 v[10:13], v30 offset:1312
	s_waitcnt lgkmcnt(0)
	v_fmac_f32_e32 v0, v9, v10
	v_fmac_f32_e32 v1, v9, v11
	;; [unrolled: 1-line block ×4, first 2 shown]
	buffer_store_dword v0, off, s[28:31], 0 offset:104 ; 4-byte Folded Spill
	s_nop 0
	buffer_store_dword v1, off, s[28:31], 0 offset:108 ; 4-byte Folded Spill
	buffer_store_dword v2, off, s[28:31], 0 offset:112 ; 4-byte Folded Spill
	;; [unrolled: 1-line block ×3, first 2 shown]
	ds_read_b128 v[10:13], v30 offset:304
	buffer_load_dword v22, off, s[28:31], 0 offset:504 ; 4-byte Folded Reload
	buffer_load_dword v23, off, s[28:31], 0 offset:508 ; 4-byte Folded Reload
	buffer_load_dword v24, off, s[28:31], 0 offset:512 ; 4-byte Folded Reload
	buffer_load_dword v25, off, s[28:31], 0 offset:516 ; 4-byte Folded Reload
	s_waitcnt vmcnt(3) lgkmcnt(0)
	v_fmac_f32_e32 v35, v10, v22
	s_waitcnt vmcnt(2)
	v_fmac_f32_e32 v35, v11, v23
	s_waitcnt vmcnt(1)
	v_fmac_f32_e32 v35, v12, v24
	s_waitcnt vmcnt(0)
	v_fmac_f32_e32 v35, v13, v25
	ds_read_b128 v[10:13], v30 offset:2352
	s_waitcnt lgkmcnt(0)
	v_mul_f32_e32 v22, v22, v10
	v_mul_f32_e32 v23, v23, v11
	v_mul_f32_e32 v24, v24, v12
	v_mul_f32_e32 v25, v25, v13
	ds_read_b128 v[10:13], v30 offset:1328
	s_waitcnt lgkmcnt(0)
	v_fmac_f32_e32 v22, v9, v10
	v_fmac_f32_e32 v23, v9, v11
	v_fmac_f32_e32 v24, v9, v12
	v_fmac_f32_e32 v25, v9, v13
	ds_read_b128 v[10:13], v30 offset:320
	buffer_load_dword v56, off, s[28:31], 0 offset:408 ; 4-byte Folded Reload
	buffer_load_dword v57, off, s[28:31], 0 offset:412 ; 4-byte Folded Reload
	buffer_load_dword v58, off, s[28:31], 0 offset:416 ; 4-byte Folded Reload
	buffer_load_dword v59, off, s[28:31], 0 offset:420 ; 4-byte Folded Reload
	s_waitcnt vmcnt(3) lgkmcnt(0)
	v_fmac_f32_e32 v35, v10, v56
	s_waitcnt vmcnt(2)
	v_fmac_f32_e32 v35, v11, v57
	s_waitcnt vmcnt(1)
	v_fmac_f32_e32 v35, v12, v58
	s_waitcnt vmcnt(0)
	v_fmac_f32_e32 v35, v13, v59
	ds_read_b128 v[10:13], v30 offset:2368
	s_waitcnt lgkmcnt(0)
	v_mul_f32_e32 v56, v56, v10
	v_mul_f32_e32 v57, v57, v11
	v_mul_f32_e32 v58, v58, v12
	v_mul_f32_e32 v59, v59, v13
	ds_read_b128 v[10:13], v30 offset:1344
	s_waitcnt lgkmcnt(0)
	v_fmac_f32_e32 v56, v9, v10
	v_fmac_f32_e32 v57, v9, v11
	v_fmac_f32_e32 v58, v9, v12
	v_fmac_f32_e32 v59, v9, v13
	;; [unrolled: 25-line block ×12, first 2 shown]
	buffer_store_dword v14, off, s[28:31], 0 offset:328 ; 4-byte Folded Spill
	s_nop 0
	buffer_store_dword v15, off, s[28:31], 0 offset:332 ; 4-byte Folded Spill
	buffer_store_dword v16, off, s[28:31], 0 offset:336 ; 4-byte Folded Spill
	;; [unrolled: 1-line block ×3, first 2 shown]
	ds_read_b128 v[10:13], v30 offset:496
	buffer_load_dword v14, off, s[28:31], 0 ; 4-byte Folded Reload
	buffer_load_dword v15, off, s[28:31], 0 offset:4 ; 4-byte Folded Reload
	buffer_load_dword v16, off, s[28:31], 0 offset:8 ; 4-byte Folded Reload
	;; [unrolled: 1-line block ×3, first 2 shown]
	s_waitcnt vmcnt(3) lgkmcnt(0)
	v_fmac_f32_e32 v35, v10, v14
	buffer_load_dword v14, off, s[28:31], 0 ; 4-byte Folded Reload
	buffer_load_dword v15, off, s[28:31], 0 offset:4 ; 4-byte Folded Reload
	buffer_load_dword v16, off, s[28:31], 0 offset:8 ; 4-byte Folded Reload
	buffer_load_dword v17, off, s[28:31], 0 offset:12 ; 4-byte Folded Reload
	s_waitcnt vmcnt(2)
	v_fmac_f32_e32 v35, v11, v15
	buffer_load_dword v14, off, s[28:31], 0 ; 4-byte Folded Reload
	buffer_load_dword v15, off, s[28:31], 0 offset:4 ; 4-byte Folded Reload
	buffer_load_dword v16, off, s[28:31], 0 offset:8 ; 4-byte Folded Reload
	buffer_load_dword v17, off, s[28:31], 0 offset:12 ; 4-byte Folded Reload
	s_waitcnt vmcnt(1)
	;; [unrolled: 6-line block ×3, first 2 shown]
	v_fmac_f32_e32 v35, v13, v17
	ds_read_b128 v[10:13], v30 offset:2544
	buffer_load_dword v14, off, s[28:31], 0 ; 4-byte Folded Reload
	buffer_load_dword v15, off, s[28:31], 0 offset:4 ; 4-byte Folded Reload
	buffer_load_dword v16, off, s[28:31], 0 offset:8 ; 4-byte Folded Reload
	;; [unrolled: 1-line block ×3, first 2 shown]
	s_waitcnt vmcnt(3) lgkmcnt(0)
	v_mul_f32_e32 v14, v14, v10
	buffer_store_dword v14, off, s[28:31], 0 ; 4-byte Folded Spill
	s_waitcnt vmcnt(3)
	buffer_store_dword v15, off, s[28:31], 0 offset:4 ; 4-byte Folded Spill
	s_waitcnt vmcnt(3)
	buffer_store_dword v16, off, s[28:31], 0 offset:8 ; 4-byte Folded Spill
	;; [unrolled: 2-line block ×3, first 2 shown]
	buffer_load_dword v14, off, s[28:31], 0 ; 4-byte Folded Reload
	s_nop 0
	buffer_load_dword v15, off, s[28:31], 0 offset:4 ; 4-byte Folded Reload
	buffer_load_dword v16, off, s[28:31], 0 offset:8 ; 4-byte Folded Reload
	;; [unrolled: 1-line block ×3, first 2 shown]
	s_waitcnt vmcnt(2)
	v_mul_f32_e32 v15, v15, v11
	buffer_store_dword v14, off, s[28:31], 0 ; 4-byte Folded Spill
	s_nop 0
	buffer_store_dword v15, off, s[28:31], 0 offset:4 ; 4-byte Folded Spill
	s_waitcnt vmcnt(3)
	buffer_store_dword v16, off, s[28:31], 0 offset:8 ; 4-byte Folded Spill
	s_waitcnt vmcnt(3)
	buffer_store_dword v17, off, s[28:31], 0 offset:12 ; 4-byte Folded Spill
	buffer_load_dword v14, off, s[28:31], 0 ; 4-byte Folded Reload
	s_nop 0
	buffer_load_dword v15, off, s[28:31], 0 offset:4 ; 4-byte Folded Reload
	buffer_load_dword v16, off, s[28:31], 0 offset:8 ; 4-byte Folded Reload
	;; [unrolled: 1-line block ×3, first 2 shown]
	s_waitcnt vmcnt(1)
	v_mul_f32_e32 v16, v16, v12
	buffer_store_dword v14, off, s[28:31], 0 ; 4-byte Folded Spill
	s_nop 0
	buffer_store_dword v15, off, s[28:31], 0 offset:4 ; 4-byte Folded Spill
	buffer_store_dword v16, off, s[28:31], 0 offset:8 ; 4-byte Folded Spill
	s_waitcnt vmcnt(3)
	buffer_store_dword v17, off, s[28:31], 0 offset:12 ; 4-byte Folded Spill
	buffer_load_dword v14, off, s[28:31], 0 ; 4-byte Folded Reload
	s_nop 0
	buffer_load_dword v15, off, s[28:31], 0 offset:4 ; 4-byte Folded Reload
	buffer_load_dword v16, off, s[28:31], 0 offset:8 ; 4-byte Folded Reload
	;; [unrolled: 1-line block ×3, first 2 shown]
	s_waitcnt vmcnt(0)
	v_mul_f32_e32 v17, v17, v13
	buffer_store_dword v14, off, s[28:31], 0 ; 4-byte Folded Spill
	s_nop 0
	buffer_store_dword v15, off, s[28:31], 0 offset:4 ; 4-byte Folded Spill
	buffer_store_dword v16, off, s[28:31], 0 offset:8 ; 4-byte Folded Spill
	;; [unrolled: 1-line block ×3, first 2 shown]
	ds_read_b128 v[10:13], v30 offset:1520
	buffer_load_dword v14, off, s[28:31], 0 ; 4-byte Folded Reload
	buffer_load_dword v15, off, s[28:31], 0 offset:4 ; 4-byte Folded Reload
	buffer_load_dword v16, off, s[28:31], 0 offset:8 ; 4-byte Folded Reload
	;; [unrolled: 1-line block ×3, first 2 shown]
	s_waitcnt vmcnt(3) lgkmcnt(0)
	v_fmac_f32_e32 v14, v9, v10
	buffer_store_dword v14, off, s[28:31], 0 ; 4-byte Folded Spill
	s_waitcnt vmcnt(3)
	buffer_store_dword v15, off, s[28:31], 0 offset:4 ; 4-byte Folded Spill
	s_waitcnt vmcnt(3)
	buffer_store_dword v16, off, s[28:31], 0 offset:8 ; 4-byte Folded Spill
	;; [unrolled: 2-line block ×3, first 2 shown]
	buffer_load_dword v14, off, s[28:31], 0 ; 4-byte Folded Reload
	s_nop 0
	buffer_load_dword v15, off, s[28:31], 0 offset:4 ; 4-byte Folded Reload
	buffer_load_dword v16, off, s[28:31], 0 offset:8 ; 4-byte Folded Reload
	;; [unrolled: 1-line block ×3, first 2 shown]
	s_waitcnt vmcnt(2)
	v_fmac_f32_e32 v15, v9, v11
	buffer_store_dword v14, off, s[28:31], 0 ; 4-byte Folded Spill
	s_nop 0
	buffer_store_dword v15, off, s[28:31], 0 offset:4 ; 4-byte Folded Spill
	s_waitcnt vmcnt(3)
	buffer_store_dword v16, off, s[28:31], 0 offset:8 ; 4-byte Folded Spill
	s_waitcnt vmcnt(3)
	buffer_store_dword v17, off, s[28:31], 0 offset:12 ; 4-byte Folded Spill
	buffer_load_dword v14, off, s[28:31], 0 ; 4-byte Folded Reload
	s_nop 0
	buffer_load_dword v15, off, s[28:31], 0 offset:4 ; 4-byte Folded Reload
	buffer_load_dword v16, off, s[28:31], 0 offset:8 ; 4-byte Folded Reload
	;; [unrolled: 1-line block ×3, first 2 shown]
	s_waitcnt vmcnt(1)
	v_fmac_f32_e32 v16, v9, v12
	buffer_store_dword v14, off, s[28:31], 0 ; 4-byte Folded Spill
	s_nop 0
	buffer_store_dword v15, off, s[28:31], 0 offset:4 ; 4-byte Folded Spill
	buffer_store_dword v16, off, s[28:31], 0 offset:8 ; 4-byte Folded Spill
	s_waitcnt vmcnt(3)
	buffer_store_dword v17, off, s[28:31], 0 offset:12 ; 4-byte Folded Spill
	buffer_load_dword v14, off, s[28:31], 0 ; 4-byte Folded Reload
	s_nop 0
	buffer_load_dword v15, off, s[28:31], 0 offset:4 ; 4-byte Folded Reload
	buffer_load_dword v16, off, s[28:31], 0 offset:8 ; 4-byte Folded Reload
	;; [unrolled: 1-line block ×3, first 2 shown]
	s_waitcnt vmcnt(0)
	v_fmac_f32_e32 v17, v9, v13
	buffer_store_dword v14, off, s[28:31], 0 ; 4-byte Folded Spill
	s_nop 0
	buffer_store_dword v15, off, s[28:31], 0 offset:4 ; 4-byte Folded Spill
	buffer_store_dword v16, off, s[28:31], 0 offset:8 ; 4-byte Folded Spill
	;; [unrolled: 1-line block ×3, first 2 shown]
	buffer_load_dword v31, off, s[28:31], 0 offset:328 ; 4-byte Folded Reload
	buffer_load_dword v32, off, s[28:31], 0 offset:332 ; 4-byte Folded Reload
	;; [unrolled: 1-line block ×4, first 2 shown]
	ds_read_b128 v[9:12], v30 offset:512
	buffer_load_dword v0, off, s[28:31], 0 offset:56 ; 4-byte Folded Reload
	buffer_load_dword v1, off, s[28:31], 0 offset:60 ; 4-byte Folded Reload
	buffer_load_dword v2, off, s[28:31], 0 offset:64 ; 4-byte Folded Reload
	buffer_load_dword v3, off, s[28:31], 0 offset:68 ; 4-byte Folded Reload
	s_waitcnt vmcnt(3) lgkmcnt(0)
	v_fmac_f32_e32 v0, v35, v9
	s_waitcnt vmcnt(2)
	v_fmac_f32_e32 v1, v35, v10
	s_waitcnt vmcnt(1)
	v_fmac_f32_e32 v2, v35, v11
	s_waitcnt vmcnt(0)
	v_fmac_f32_e32 v3, v35, v12
	buffer_store_dword v0, off, s[28:31], 0 offset:56 ; 4-byte Folded Spill
	s_nop 0
	buffer_store_dword v1, off, s[28:31], 0 offset:60 ; 4-byte Folded Spill
	buffer_store_dword v2, off, s[28:31], 0 offset:64 ; 4-byte Folded Spill
	buffer_store_dword v3, off, s[28:31], 0 offset:68 ; 4-byte Folded Spill
	ds_read_b128 v[9:12], v30 offset:528
	buffer_load_dword v0, off, s[28:31], 0 offset:296 ; 4-byte Folded Reload
	buffer_load_dword v1, off, s[28:31], 0 offset:300 ; 4-byte Folded Reload
	buffer_load_dword v2, off, s[28:31], 0 offset:304 ; 4-byte Folded Reload
	buffer_load_dword v3, off, s[28:31], 0 offset:308 ; 4-byte Folded Reload
	s_waitcnt vmcnt(3) lgkmcnt(0)
	v_fmac_f32_e32 v0, v35, v9
	s_waitcnt vmcnt(2)
	v_fmac_f32_e32 v1, v35, v10
	s_waitcnt vmcnt(1)
	v_fmac_f32_e32 v2, v35, v11
	s_waitcnt vmcnt(0)
	v_fmac_f32_e32 v3, v35, v12
	buffer_store_dword v0, off, s[28:31], 0 offset:296 ; 4-byte Folded Spill
	s_nop 0
	buffer_store_dword v1, off, s[28:31], 0 offset:300 ; 4-byte Folded Spill
	buffer_store_dword v2, off, s[28:31], 0 offset:304 ; 4-byte Folded Spill
	buffer_store_dword v3, off, s[28:31], 0 offset:308 ; 4-byte Folded Spill
	;; [unrolled: 18-line block ×18, first 2 shown]
	ds_read_b128 v[9:12], v30 offset:800
	buffer_load_dword v13, off, s[28:31], 0 offset:104 ; 4-byte Folded Reload
	buffer_load_dword v14, off, s[28:31], 0 offset:108 ; 4-byte Folded Reload
	;; [unrolled: 1-line block ×4, first 2 shown]
	s_waitcnt vmcnt(3) lgkmcnt(0)
	v_fmac_f32_e32 v13, v35, v9
	s_waitcnt vmcnt(2)
	v_fmac_f32_e32 v14, v35, v10
	s_waitcnt vmcnt(1)
	;; [unrolled: 2-line block ×3, first 2 shown]
	v_fmac_f32_e32 v16, v35, v12
	ds_read_b128 v[9:12], v30 offset:816
	s_waitcnt lgkmcnt(0)
	v_fmac_f32_e32 v22, v35, v9
	v_fmac_f32_e32 v23, v35, v10
	v_fmac_f32_e32 v24, v35, v11
	v_fmac_f32_e32 v25, v35, v12
	ds_read_b128 v[9:12], v30 offset:832
	s_waitcnt lgkmcnt(0)
	v_fmac_f32_e32 v56, v35, v9
	v_fmac_f32_e32 v57, v35, v10
	v_fmac_f32_e32 v58, v35, v11
	;; [unrolled: 6-line block ×12, first 2 shown]
	v_fmac_f32_e32 v34, v35, v12
	ds_read_b128 v[9:12], v30 offset:1008
	buffer_load_dword v0, off, s[28:31], 0  ; 4-byte Folded Reload
	buffer_load_dword v1, off, s[28:31], 0 offset:4 ; 4-byte Folded Reload
	buffer_load_dword v2, off, s[28:31], 0 offset:8 ; 4-byte Folded Reload
	;; [unrolled: 1-line block ×3, first 2 shown]
	s_waitcnt vmcnt(3) lgkmcnt(0)
	v_fmac_f32_e32 v0, v35, v9
	s_waitcnt vmcnt(2)
	v_fmac_f32_e32 v1, v35, v10
	s_waitcnt vmcnt(1)
	;; [unrolled: 2-line block ×3, first 2 shown]
	v_fmac_f32_e32 v3, v35, v12
	buffer_store_dword v0, off, s[28:31], 0 ; 4-byte Folded Spill
	s_nop 0
	buffer_store_dword v1, off, s[28:31], 0 offset:4 ; 4-byte Folded Spill
	buffer_store_dword v2, off, s[28:31], 0 offset:8 ; 4-byte Folded Spill
	;; [unrolled: 1-line block ×3, first 2 shown]
	ds_read_b128 v[9:12], v30 offset:1536
	buffer_load_dword v0, off, s[28:31], 0 offset:56 ; 4-byte Folded Reload
	buffer_load_dword v1, off, s[28:31], 0 offset:60 ; 4-byte Folded Reload
	;; [unrolled: 1-line block ×4, first 2 shown]
	s_waitcnt vmcnt(3) lgkmcnt(0)
	v_fma_f32 v0, v0, v9, 0
	s_waitcnt vmcnt(2)
	v_fmac_f32_e32 v0, v1, v10
	s_waitcnt vmcnt(1)
	v_fmac_f32_e32 v0, v2, v11
	s_waitcnt vmcnt(0)
	v_fmac_f32_e32 v0, v3, v12
	ds_read_b128 v[9:12], v30 offset:1552
	buffer_load_dword v1, off, s[28:31], 0 offset:296 ; 4-byte Folded Reload
	buffer_load_dword v2, off, s[28:31], 0 offset:300 ; 4-byte Folded Reload
	buffer_load_dword v3, off, s[28:31], 0 offset:304 ; 4-byte Folded Reload
	buffer_load_dword v4, off, s[28:31], 0 offset:308 ; 4-byte Folded Reload
	s_waitcnt vmcnt(3) lgkmcnt(0)
	v_fmac_f32_e32 v0, v1, v9
	s_waitcnt vmcnt(2)
	v_fmac_f32_e32 v0, v2, v10
	s_waitcnt vmcnt(1)
	v_fmac_f32_e32 v0, v3, v11
	s_waitcnt vmcnt(0)
	v_fmac_f32_e32 v0, v4, v12
	ds_read_b128 v[9:12], v30 offset:1568
	buffer_load_dword v1, off, s[28:31], 0 offset:280 ; 4-byte Folded Reload
	buffer_load_dword v2, off, s[28:31], 0 offset:284 ; 4-byte Folded Reload
	buffer_load_dword v3, off, s[28:31], 0 offset:288 ; 4-byte Folded Reload
	buffer_load_dword v4, off, s[28:31], 0 offset:292 ; 4-byte Folded Reload
	s_waitcnt vmcnt(3) lgkmcnt(0)
	v_fmac_f32_e32 v0, v1, v9
	;; [unrolled: 13-line block ×17, first 2 shown]
	s_waitcnt vmcnt(2)
	v_fmac_f32_e32 v0, v2, v10
	s_waitcnt vmcnt(1)
	v_fmac_f32_e32 v0, v3, v11
	;; [unrolled: 2-line block ×3, first 2 shown]
	ds_read_b128 v[9:12], v30 offset:1824
	s_waitcnt lgkmcnt(0)
	v_fmac_f32_e32 v0, v13, v9
	v_fmac_f32_e32 v0, v14, v10
	v_fmac_f32_e32 v0, v15, v11
	buffer_store_dword v13, off, s[28:31], 0 offset:104 ; 4-byte Folded Spill
	s_nop 0
	buffer_store_dword v14, off, s[28:31], 0 offset:108 ; 4-byte Folded Spill
	buffer_store_dword v15, off, s[28:31], 0 offset:112 ; 4-byte Folded Spill
	buffer_store_dword v16, off, s[28:31], 0 offset:116 ; 4-byte Folded Spill
	v_fmac_f32_e32 v0, v16, v12
	ds_read_b128 v[9:12], v30 offset:1840
	s_waitcnt lgkmcnt(0)
	v_fmac_f32_e32 v0, v22, v9
	v_fmac_f32_e32 v0, v23, v10
	v_fmac_f32_e32 v0, v24, v11
	buffer_store_dword v22, off, s[28:31], 0 offset:504 ; 4-byte Folded Spill
	s_nop 0
	buffer_store_dword v23, off, s[28:31], 0 offset:508 ; 4-byte Folded Spill
	buffer_store_dword v24, off, s[28:31], 0 offset:512 ; 4-byte Folded Spill
	buffer_store_dword v25, off, s[28:31], 0 offset:516 ; 4-byte Folded Spill
	v_fmac_f32_e32 v0, v25, v12
	;; [unrolled: 11-line block ×10, first 2 shown]
	ds_read_b128 v[9:12], v30 offset:1984
	s_waitcnt lgkmcnt(0)
	v_fmac_f32_e32 v0, v18, v9
	v_fmac_f32_e32 v0, v19, v10
	;; [unrolled: 1-line block ×3, first 2 shown]
	buffer_store_dword v18, off, s[28:31], 0 offset:360 ; 4-byte Folded Spill
	s_nop 0
	buffer_store_dword v19, off, s[28:31], 0 offset:364 ; 4-byte Folded Spill
	buffer_store_dword v20, off, s[28:31], 0 offset:368 ; 4-byte Folded Spill
	;; [unrolled: 1-line block ×3, first 2 shown]
	buffer_load_dword v17, off, s[28:31], 0 offset:520 ; 4-byte Folded Reload
	s_nop 0
	buffer_load_dword v18, off, s[28:31], 0 offset:524 ; 4-byte Folded Reload
	v_fmac_f32_e32 v0, v21, v12
	ds_read_b128 v[9:12], v30 offset:2000
	s_waitcnt vmcnt(1)
	v_add_u32_e32 v17, s2, v17
	s_waitcnt lgkmcnt(0)
	v_fmac_f32_e32 v0, v5, v9
	v_fmac_f32_e32 v0, v6, v10
	;; [unrolled: 1-line block ×3, first 2 shown]
	buffer_store_dword v5, off, s[28:31], 0 offset:344 ; 4-byte Folded Spill
	s_nop 0
	buffer_store_dword v6, off, s[28:31], 0 offset:348 ; 4-byte Folded Spill
	buffer_store_dword v7, off, s[28:31], 0 offset:352 ; 4-byte Folded Spill
	;; [unrolled: 1-line block ×3, first 2 shown]
	v_fmac_f32_e32 v0, v8, v12
	ds_read_b128 v[9:12], v30 offset:2016
	s_waitcnt lgkmcnt(0)
	v_fmac_f32_e32 v0, v31, v9
	v_fmac_f32_e32 v0, v32, v10
	;; [unrolled: 1-line block ×3, first 2 shown]
	buffer_store_dword v31, off, s[28:31], 0 offset:328 ; 4-byte Folded Spill
	s_nop 0
	buffer_store_dword v32, off, s[28:31], 0 offset:332 ; 4-byte Folded Spill
	buffer_store_dword v33, off, s[28:31], 0 offset:336 ; 4-byte Folded Spill
	;; [unrolled: 1-line block ×3, first 2 shown]
	v_fmac_f32_e32 v0, v34, v12
	ds_read_b128 v[9:12], v30 offset:2032
	buffer_load_dword v1, off, s[28:31], 0  ; 4-byte Folded Reload
	buffer_load_dword v2, off, s[28:31], 0 offset:4 ; 4-byte Folded Reload
	buffer_load_dword v3, off, s[28:31], 0 offset:8 ; 4-byte Folded Reload
	;; [unrolled: 1-line block ×3, first 2 shown]
	s_waitcnt vmcnt(3) lgkmcnt(0)
	v_fmac_f32_e32 v0, v1, v9
	s_waitcnt vmcnt(2)
	v_fmac_f32_e32 v0, v2, v10
	s_waitcnt vmcnt(1)
	;; [unrolled: 2-line block ×3, first 2 shown]
	v_mov_b32_e32 v16, v4
	v_mov_b32_e32 v15, v3
	;; [unrolled: 1-line block ×4, first 2 shown]
	buffer_load_dword v1, off, s[28:31], 0 offset:16 ; 4-byte Folded Reload
	buffer_load_dword v2, off, s[28:31], 0 offset:20 ; 4-byte Folded Reload
	v_mov_b32_e32 v10, s23
	v_fmac_f32_e32 v0, v4, v12
	s_waitcnt vmcnt(1)
	v_add_co_u32_e32 v9, vcc, s22, v1
	buffer_load_dword v1, off, s[28:31], 0 offset:16 ; 4-byte Folded Reload
	buffer_load_dword v2, off, s[28:31], 0 offset:20 ; 4-byte Folded Reload
	s_waitcnt vmcnt(0)
	v_addc_co_u32_e32 v10, vcc, v10, v2, vcc
	global_store_dword v[9:10], v0, off
	buffer_load_dword v9, off, s[28:31], 0 offset:532 ; 4-byte Folded Reload
	s_nop 0
	buffer_load_dword v10, off, s[28:31], 0 offset:16 ; 4-byte Folded Reload
	buffer_load_dword v11, off, s[28:31], 0 offset:20 ; 4-byte Folded Reload
	v_mov_b32_e32 v0, s21
	s_waitcnt vmcnt(1)
	v_add_co_u32_e32 v10, vcc, s20, v10
	s_waitcnt vmcnt(0)
	v_addc_co_u32_e32 v11, vcc, v11, v0, vcc
	v_cmp_ge_i32_e32 vcc, v17, v9
	s_or_b64 s[6:7], vcc, s[6:7]
	s_andn2_b64 exec, exec, s[6:7]
	s_cbranch_execnz .LBB3_2
; %bb.3:
	s_or_b64 exec, exec, s[6:7]
	buffer_load_dword v30, off, s[28:31], 0 offset:88 ; 4-byte Folded Reload
	buffer_load_dword v31, off, s[28:31], 0 offset:92 ; 4-byte Folded Reload
	buffer_load_dword v32, off, s[28:31], 0 offset:96 ; 4-byte Folded Reload
	buffer_load_dword v33, off, s[28:31], 0 offset:100 ; 4-byte Folded Reload
	buffer_load_dword v26, off, s[28:31], 0 offset:312 ; 4-byte Folded Reload
	buffer_load_dword v27, off, s[28:31], 0 offset:316 ; 4-byte Folded Reload
	buffer_load_dword v28, off, s[28:31], 0 offset:320 ; 4-byte Folded Reload
	buffer_load_dword v29, off, s[28:31], 0 offset:324 ; 4-byte Folded Reload
	buffer_load_dword v22, off, s[28:31], 0 offset:72 ; 4-byte Folded Reload
	buffer_load_dword v23, off, s[28:31], 0 offset:76 ; 4-byte Folded Reload
	buffer_load_dword v24, off, s[28:31], 0 offset:80 ; 4-byte Folded Reload
	buffer_load_dword v25, off, s[28:31], 0 offset:84 ; 4-byte Folded Reload
	buffer_load_dword v5, off, s[28:31], 0 offset:104 ; 4-byte Folded Reload
	buffer_load_dword v6, off, s[28:31], 0 offset:108 ; 4-byte Folded Reload
	buffer_load_dword v7, off, s[28:31], 0 offset:112 ; 4-byte Folded Reload
	buffer_load_dword v8, off, s[28:31], 0 offset:116 ; 4-byte Folded Reload
	buffer_load_dword v1, off, s[28:31], 0 offset:504 ; 4-byte Folded Reload
	buffer_load_dword v2, off, s[28:31], 0 offset:508 ; 4-byte Folded Reload
	buffer_load_dword v3, off, s[28:31], 0 offset:512 ; 4-byte Folded Reload
	buffer_load_dword v4, off, s[28:31], 0 offset:516 ; 4-byte Folded Reload
	buffer_load_dword v58, off, s[28:31], 0 offset:408 ; 4-byte Folded Reload
	buffer_load_dword v59, off, s[28:31], 0 offset:412 ; 4-byte Folded Reload
	buffer_load_dword v60, off, s[28:31], 0 offset:416 ; 4-byte Folded Reload
	buffer_load_dword v61, off, s[28:31], 0 offset:420 ; 4-byte Folded Reload
	buffer_load_dword v54, off, s[28:31], 0 offset:424 ; 4-byte Folded Reload
	buffer_load_dword v55, off, s[28:31], 0 offset:428 ; 4-byte Folded Reload
	buffer_load_dword v56, off, s[28:31], 0 offset:432 ; 4-byte Folded Reload
	buffer_load_dword v57, off, s[28:31], 0 offset:436 ; 4-byte Folded Reload
	buffer_load_dword v50, off, s[28:31], 0 offset:440 ; 4-byte Folded Reload
	buffer_load_dword v51, off, s[28:31], 0 offset:444 ; 4-byte Folded Reload
	buffer_load_dword v52, off, s[28:31], 0 offset:448 ; 4-byte Folded Reload
	buffer_load_dword v53, off, s[28:31], 0 offset:452 ; 4-byte Folded Reload
	buffer_load_dword v46, off, s[28:31], 0 offset:456 ; 4-byte Folded Reload
	buffer_load_dword v47, off, s[28:31], 0 offset:460 ; 4-byte Folded Reload
	buffer_load_dword v48, off, s[28:31], 0 offset:464 ; 4-byte Folded Reload
	buffer_load_dword v49, off, s[28:31], 0 offset:468 ; 4-byte Folded Reload
	buffer_load_dword v42, off, s[28:31], 0 offset:472 ; 4-byte Folded Reload
	buffer_load_dword v43, off, s[28:31], 0 offset:476 ; 4-byte Folded Reload
	buffer_load_dword v44, off, s[28:31], 0 offset:480 ; 4-byte Folded Reload
	buffer_load_dword v45, off, s[28:31], 0 offset:484 ; 4-byte Folded Reload
	buffer_load_dword v38, off, s[28:31], 0 offset:488 ; 4-byte Folded Reload
	buffer_load_dword v39, off, s[28:31], 0 offset:492 ; 4-byte Folded Reload
	buffer_load_dword v40, off, s[28:31], 0 offset:496 ; 4-byte Folded Reload
	buffer_load_dword v41, off, s[28:31], 0 offset:500 ; 4-byte Folded Reload
	buffer_load_dword v11, off, s[28:31], 0 offset:536 ; 4-byte Folded Reload
	buffer_load_dword v12, off, s[28:31], 0 offset:540 ; 4-byte Folded Reload
.LBB3_4:
	s_or_b64 exec, exec, s[4:5]
	buffer_load_dword v17, off, s[28:31], 0 offset:56 ; 4-byte Folded Reload
	buffer_load_dword v18, off, s[28:31], 0 offset:60 ; 4-byte Folded Reload
	;; [unrolled: 1-line block ×4, first 2 shown]
	s_mul_i32 s0, s2, s1
	s_waitcnt vmcnt(5)
	v_add_u32_e32 v9, s0, v11
	v_ashrrev_i32_e32 v10, 31, v9
	v_lshlrev_b64 v[9:10], 2, v[9:10]
	v_mov_b32_e32 v0, s23
	v_add_co_u32_e32 v9, vcc, s22, v9
	v_addc_co_u32_e32 v10, vcc, v0, v10, vcc
	s_waitcnt vmcnt(0)
	global_store_dwordx4 v[9:10], v[17:20], off
	buffer_load_dword v17, off, s[28:31], 0 offset:296 ; 4-byte Folded Reload
	s_nop 0
	buffer_load_dword v18, off, s[28:31], 0 offset:300 ; 4-byte Folded Reload
	buffer_load_dword v19, off, s[28:31], 0 offset:304 ; 4-byte Folded Reload
	buffer_load_dword v20, off, s[28:31], 0 offset:308 ; 4-byte Folded Reload
	s_waitcnt vmcnt(0)
	global_store_dwordx4 v[9:10], v[17:20], off offset:16
	buffer_load_dword v17, off, s[28:31], 0 offset:280 ; 4-byte Folded Reload
	s_nop 0
	buffer_load_dword v18, off, s[28:31], 0 offset:284 ; 4-byte Folded Reload
	buffer_load_dword v19, off, s[28:31], 0 offset:288 ; 4-byte Folded Reload
	buffer_load_dword v20, off, s[28:31], 0 offset:292 ; 4-byte Folded Reload
	s_waitcnt vmcnt(0)
	global_store_dwordx4 v[9:10], v[17:20], off offset:32
	;; [unrolled: 7-line block ×13, first 2 shown]
	global_store_dwordx4 v[9:10], v[30:33], off offset:224
	global_store_dwordx4 v[9:10], v[26:29], off offset:240
	;; [unrolled: 1-line block ×3, first 2 shown]
	buffer_load_dword v17, off, s[28:31], 0 offset:24 ; 4-byte Folded Reload
	s_nop 0
	buffer_load_dword v18, off, s[28:31], 0 offset:28 ; 4-byte Folded Reload
	buffer_load_dword v19, off, s[28:31], 0 offset:32 ; 4-byte Folded Reload
	;; [unrolled: 1-line block ×3, first 2 shown]
	s_waitcnt vmcnt(0)
	global_store_dwordx4 v[9:10], v[17:20], off offset:272
	global_store_dwordx4 v[9:10], v[5:8], off offset:288
	;; [unrolled: 1-line block ×9, first 2 shown]
	buffer_load_dword v0, off, s[28:31], 0 offset:392 ; 4-byte Folded Reload
	buffer_load_dword v1, off, s[28:31], 0 offset:396 ; 4-byte Folded Reload
	;; [unrolled: 1-line block ×4, first 2 shown]
	s_waitcnt vmcnt(0)
	global_store_dwordx4 v[9:10], v[0:3], off offset:416
	buffer_load_dword v0, off, s[28:31], 0 offset:376 ; 4-byte Folded Reload
	s_nop 0
	buffer_load_dword v1, off, s[28:31], 0 offset:380 ; 4-byte Folded Reload
	buffer_load_dword v2, off, s[28:31], 0 offset:384 ; 4-byte Folded Reload
	buffer_load_dword v3, off, s[28:31], 0 offset:388 ; 4-byte Folded Reload
	s_waitcnt vmcnt(0)
	global_store_dwordx4 v[9:10], v[0:3], off offset:432
	buffer_load_dword v0, off, s[28:31], 0 offset:360 ; 4-byte Folded Reload
	s_nop 0
	buffer_load_dword v1, off, s[28:31], 0 offset:364 ; 4-byte Folded Reload
	buffer_load_dword v2, off, s[28:31], 0 offset:368 ; 4-byte Folded Reload
	buffer_load_dword v3, off, s[28:31], 0 offset:372 ; 4-byte Folded Reload
	;; [unrolled: 7-line block ×4, first 2 shown]
	s_waitcnt vmcnt(0)
	global_store_dwordx4 v[9:10], v[0:3], off offset:480
	global_store_dwordx4 v[9:10], v[13:16], off offset:496
	s_endpgm
	.section	.rodata,"a",@progbits
	.p2align	6, 0x0
	.amdhsa_kernel _ZL13rwkv_wkv7_f32ILi128EEviiiiPKfS1_S1_S1_S1_S1_S1_Pf
		.amdhsa_group_segment_fixed_size 2560
		.amdhsa_private_segment_fixed_size 548
		.amdhsa_kernarg_size 80
		.amdhsa_user_sgpr_count 6
		.amdhsa_user_sgpr_private_segment_buffer 1
		.amdhsa_user_sgpr_dispatch_ptr 0
		.amdhsa_user_sgpr_queue_ptr 0
		.amdhsa_user_sgpr_kernarg_segment_ptr 1
		.amdhsa_user_sgpr_dispatch_id 0
		.amdhsa_user_sgpr_flat_scratch_init 0
		.amdhsa_user_sgpr_private_segment_size 0
		.amdhsa_uses_dynamic_stack 0
		.amdhsa_system_sgpr_private_segment_wavefront_offset 1
		.amdhsa_system_sgpr_workgroup_id_x 1
		.amdhsa_system_sgpr_workgroup_id_y 0
		.amdhsa_system_sgpr_workgroup_id_z 0
		.amdhsa_system_sgpr_workgroup_info 0
		.amdhsa_system_vgpr_workitem_id 0
		.amdhsa_next_free_vgpr 64
		.amdhsa_next_free_sgpr 61
		.amdhsa_reserve_vcc 1
		.amdhsa_reserve_flat_scratch 0
		.amdhsa_float_round_mode_32 0
		.amdhsa_float_round_mode_16_64 0
		.amdhsa_float_denorm_mode_32 3
		.amdhsa_float_denorm_mode_16_64 3
		.amdhsa_dx10_clamp 1
		.amdhsa_ieee_mode 1
		.amdhsa_fp16_overflow 0
		.amdhsa_exception_fp_ieee_invalid_op 0
		.amdhsa_exception_fp_denorm_src 0
		.amdhsa_exception_fp_ieee_div_zero 0
		.amdhsa_exception_fp_ieee_overflow 0
		.amdhsa_exception_fp_ieee_underflow 0
		.amdhsa_exception_fp_ieee_inexact 0
		.amdhsa_exception_int_div_zero 0
	.end_amdhsa_kernel
	.section	.text._ZL13rwkv_wkv7_f32ILi128EEviiiiPKfS1_S1_S1_S1_S1_S1_Pf,"axG",@progbits,_ZL13rwkv_wkv7_f32ILi128EEviiiiPKfS1_S1_S1_S1_S1_S1_Pf,comdat
.Lfunc_end3:
	.size	_ZL13rwkv_wkv7_f32ILi128EEviiiiPKfS1_S1_S1_S1_S1_S1_Pf, .Lfunc_end3-_ZL13rwkv_wkv7_f32ILi128EEviiiiPKfS1_S1_S1_S1_S1_S1_Pf
                                        ; -- End function
	.set _ZL13rwkv_wkv7_f32ILi128EEviiiiPKfS1_S1_S1_S1_S1_S1_Pf.num_vgpr, 64
	.set _ZL13rwkv_wkv7_f32ILi128EEviiiiPKfS1_S1_S1_S1_S1_S1_Pf.num_agpr, 0
	.set _ZL13rwkv_wkv7_f32ILi128EEviiiiPKfS1_S1_S1_S1_S1_S1_Pf.numbered_sgpr, 32
	.set _ZL13rwkv_wkv7_f32ILi128EEviiiiPKfS1_S1_S1_S1_S1_S1_Pf.num_named_barrier, 0
	.set _ZL13rwkv_wkv7_f32ILi128EEviiiiPKfS1_S1_S1_S1_S1_S1_Pf.private_seg_size, 548
	.set _ZL13rwkv_wkv7_f32ILi128EEviiiiPKfS1_S1_S1_S1_S1_S1_Pf.uses_vcc, 1
	.set _ZL13rwkv_wkv7_f32ILi128EEviiiiPKfS1_S1_S1_S1_S1_S1_Pf.uses_flat_scratch, 0
	.set _ZL13rwkv_wkv7_f32ILi128EEviiiiPKfS1_S1_S1_S1_S1_S1_Pf.has_dyn_sized_stack, 0
	.set _ZL13rwkv_wkv7_f32ILi128EEviiiiPKfS1_S1_S1_S1_S1_S1_Pf.has_recursion, 0
	.set _ZL13rwkv_wkv7_f32ILi128EEviiiiPKfS1_S1_S1_S1_S1_S1_Pf.has_indirect_call, 0
	.section	.AMDGPU.csdata,"",@progbits
; Kernel info:
; codeLenInByte = 14760
; TotalNumSgprs: 36
; NumVgprs: 64
; ScratchSize: 548
; MemoryBound: 0
; FloatMode: 240
; IeeeMode: 1
; LDSByteSize: 2560 bytes/workgroup (compile time only)
; SGPRBlocks: 8
; VGPRBlocks: 15
; NumSGPRsForWavesPerEU: 65
; NumVGPRsForWavesPerEU: 64
; Occupancy: 4
; WaveLimiterHint : 0
; COMPUTE_PGM_RSRC2:SCRATCH_EN: 1
; COMPUTE_PGM_RSRC2:USER_SGPR: 6
; COMPUTE_PGM_RSRC2:TRAP_HANDLER: 0
; COMPUTE_PGM_RSRC2:TGID_X_EN: 1
; COMPUTE_PGM_RSRC2:TGID_Y_EN: 0
; COMPUTE_PGM_RSRC2:TGID_Z_EN: 0
; COMPUTE_PGM_RSRC2:TIDIG_COMP_CNT: 0
	.section	.AMDGPU.gpr_maximums,"",@progbits
	.set amdgpu.max_num_vgpr, 0
	.set amdgpu.max_num_agpr, 0
	.set amdgpu.max_num_sgpr, 0
	.section	.AMDGPU.csdata,"",@progbits
	.type	__hip_cuid_b77c2bbc10c92547,@object ; @__hip_cuid_b77c2bbc10c92547
	.section	.bss,"aw",@nobits
	.globl	__hip_cuid_b77c2bbc10c92547
__hip_cuid_b77c2bbc10c92547:
	.byte	0                               ; 0x0
	.size	__hip_cuid_b77c2bbc10c92547, 1

	.ident	"AMD clang version 22.0.0git (https://github.com/RadeonOpenCompute/llvm-project roc-7.2.4 26084 f58b06dce1f9c15707c5f808fd002e18c2accf7e)"
	.section	".note.GNU-stack","",@progbits
	.addrsig
	.addrsig_sym __hip_cuid_b77c2bbc10c92547
	.amdgpu_metadata
---
amdhsa.kernels:
  - .args:
      - .offset:         0
        .size:           4
        .value_kind:     by_value
      - .offset:         4
        .size:           4
        .value_kind:     by_value
      - .offset:         8
        .size:           4
        .value_kind:     by_value
      - .offset:         12
        .size:           4
        .value_kind:     by_value
      - .address_space:  global
        .offset:         16
        .size:           8
        .value_kind:     global_buffer
      - .address_space:  global
        .offset:         24
        .size:           8
        .value_kind:     global_buffer
      - .address_space:  global
        .offset:         32
        .size:           8
        .value_kind:     global_buffer
      - .address_space:  global
        .offset:         40
        .size:           8
        .value_kind:     global_buffer
      - .address_space:  global
        .offset:         48
        .size:           8
        .value_kind:     global_buffer
      - .address_space:  global
        .offset:         56
        .size:           8
        .value_kind:     global_buffer
      - .address_space:  global
        .offset:         64
        .size:           8
        .value_kind:     global_buffer
    .group_segment_fixed_size: 1024
    .kernarg_segment_align: 8
    .kernarg_segment_size: 72
    .language:       OpenCL C
    .language_version:
      - 2
      - 0
    .max_flat_workgroup_size: 1024
    .name:           _ZL12rwkv_wkv_f32ILi64EEviiiiPKfS1_S1_S1_S1_S1_Pf
    .private_segment_fixed_size: 280
    .sgpr_count:     36
    .sgpr_spill_count: 0
    .symbol:         _ZL12rwkv_wkv_f32ILi64EEviiiiPKfS1_S1_S1_S1_S1_Pf.kd
    .uniform_work_group_size: 1
    .uses_dynamic_stack: false
    .vgpr_count:     64
    .vgpr_spill_count: 88
    .wavefront_size: 64
  - .args:
      - .offset:         0
        .size:           4
        .value_kind:     by_value
      - .offset:         4
        .size:           4
        .value_kind:     by_value
      - .offset:         8
        .size:           4
        .value_kind:     by_value
      - .offset:         12
        .size:           4
        .value_kind:     by_value
      - .address_space:  global
        .offset:         16
        .size:           8
        .value_kind:     global_buffer
      - .address_space:  global
        .offset:         24
        .size:           8
        .value_kind:     global_buffer
      - .address_space:  global
        .offset:         32
        .size:           8
        .value_kind:     global_buffer
      - .address_space:  global
        .offset:         40
        .size:           8
        .value_kind:     global_buffer
      - .address_space:  global
        .offset:         48
        .size:           8
        .value_kind:     global_buffer
      - .address_space:  global
        .offset:         56
        .size:           8
        .value_kind:     global_buffer
      - .address_space:  global
        .offset:         64
        .size:           8
        .value_kind:     global_buffer
    .group_segment_fixed_size: 2048
    .kernarg_segment_align: 8
    .kernarg_segment_size: 72
    .language:       OpenCL C
    .language_version:
      - 2
      - 0
    .max_flat_workgroup_size: 1024
    .name:           _ZL12rwkv_wkv_f32ILi128EEviiiiPKfS1_S1_S1_S1_S1_Pf
    .private_segment_fixed_size: 548
    .sgpr_count:     36
    .sgpr_spill_count: 0
    .symbol:         _ZL12rwkv_wkv_f32ILi128EEviiiiPKfS1_S1_S1_S1_S1_Pf.kd
    .uniform_work_group_size: 1
    .uses_dynamic_stack: false
    .vgpr_count:     64
    .vgpr_spill_count: 228
    .wavefront_size: 64
  - .args:
      - .offset:         0
        .size:           4
        .value_kind:     by_value
      - .offset:         4
        .size:           4
        .value_kind:     by_value
      - .offset:         8
        .size:           4
        .value_kind:     by_value
      - .offset:         12
        .size:           4
        .value_kind:     by_value
      - .address_space:  global
        .offset:         16
        .size:           8
        .value_kind:     global_buffer
      - .address_space:  global
        .offset:         24
        .size:           8
        .value_kind:     global_buffer
      - .address_space:  global
        .offset:         32
        .size:           8
        .value_kind:     global_buffer
      - .address_space:  global
        .offset:         40
        .size:           8
        .value_kind:     global_buffer
      - .address_space:  global
        .offset:         48
        .size:           8
        .value_kind:     global_buffer
      - .address_space:  global
        .offset:         56
        .size:           8
        .value_kind:     global_buffer
      - .address_space:  global
        .offset:         64
        .size:           8
        .value_kind:     global_buffer
      - .address_space:  global
        .offset:         72
        .size:           8
        .value_kind:     global_buffer
    .group_segment_fixed_size: 1280
    .kernarg_segment_align: 8
    .kernarg_segment_size: 80
    .language:       OpenCL C
    .language_version:
      - 2
      - 0
    .max_flat_workgroup_size: 1024
    .name:           _ZL13rwkv_wkv7_f32ILi64EEviiiiPKfS1_S1_S1_S1_S1_S1_Pf
    .private_segment_fixed_size: 148
    .sgpr_count:     36
    .sgpr_spill_count: 0
    .symbol:         _ZL13rwkv_wkv7_f32ILi64EEviiiiPKfS1_S1_S1_S1_S1_S1_Pf.kd
    .uniform_work_group_size: 1
    .uses_dynamic_stack: false
    .vgpr_count:     64
    .vgpr_spill_count: 92
    .wavefront_size: 64
  - .args:
      - .offset:         0
        .size:           4
        .value_kind:     by_value
      - .offset:         4
        .size:           4
        .value_kind:     by_value
      - .offset:         8
        .size:           4
        .value_kind:     by_value
      - .offset:         12
        .size:           4
        .value_kind:     by_value
      - .address_space:  global
        .offset:         16
        .size:           8
        .value_kind:     global_buffer
      - .address_space:  global
        .offset:         24
        .size:           8
        .value_kind:     global_buffer
      - .address_space:  global
        .offset:         32
        .size:           8
        .value_kind:     global_buffer
      - .address_space:  global
        .offset:         40
        .size:           8
        .value_kind:     global_buffer
      - .address_space:  global
        .offset:         48
        .size:           8
        .value_kind:     global_buffer
      - .address_space:  global
        .offset:         56
        .size:           8
        .value_kind:     global_buffer
      - .address_space:  global
        .offset:         64
        .size:           8
        .value_kind:     global_buffer
      - .address_space:  global
        .offset:         72
        .size:           8
        .value_kind:     global_buffer
    .group_segment_fixed_size: 2560
    .kernarg_segment_align: 8
    .kernarg_segment_size: 80
    .language:       OpenCL C
    .language_version:
      - 2
      - 0
    .max_flat_workgroup_size: 1024
    .name:           _ZL13rwkv_wkv7_f32ILi128EEviiiiPKfS1_S1_S1_S1_S1_S1_Pf
    .private_segment_fixed_size: 548
    .sgpr_count:     36
    .sgpr_spill_count: 0
    .symbol:         _ZL13rwkv_wkv7_f32ILi128EEviiiiPKfS1_S1_S1_S1_S1_S1_Pf.kd
    .uniform_work_group_size: 1
    .uses_dynamic_stack: false
    .vgpr_count:     64
    .vgpr_spill_count: 396
    .wavefront_size: 64
amdhsa.target:   amdgcn-amd-amdhsa--gfx906
amdhsa.version:
  - 1
  - 2
...

	.end_amdgpu_metadata
